;; amdgpu-corpus repo=ROCm/rocSPARSE kind=compiled arch=gfx906 opt=O3
	.amdgcn_target "amdgcn-amd-amdhsa--gfx906"
	.amdhsa_code_object_version 6
	.section	.text._ZN9rocsparseL12ell2csr_fillILj256EfiiEEvT2_S1_S1_PKS1_PKT0_21rocsparse_index_base_PKT1_PS1_PS4_S7_,"axG",@progbits,_ZN9rocsparseL12ell2csr_fillILj256EfiiEEvT2_S1_S1_PKS1_PKT0_21rocsparse_index_base_PKT1_PS1_PS4_S7_,comdat
	.globl	_ZN9rocsparseL12ell2csr_fillILj256EfiiEEvT2_S1_S1_PKS1_PKT0_21rocsparse_index_base_PKT1_PS1_PS4_S7_ ; -- Begin function _ZN9rocsparseL12ell2csr_fillILj256EfiiEEvT2_S1_S1_PKS1_PKT0_21rocsparse_index_base_PKT1_PS1_PS4_S7_
	.p2align	8
	.type	_ZN9rocsparseL12ell2csr_fillILj256EfiiEEvT2_S1_S1_PKS1_PKT0_21rocsparse_index_base_PKT1_PS1_PS4_S7_,@function
_ZN9rocsparseL12ell2csr_fillILj256EfiiEEvT2_S1_S1_PKS1_PKT0_21rocsparse_index_base_PKT1_PS1_PS4_S7_: ; @_ZN9rocsparseL12ell2csr_fillILj256EfiiEEvT2_S1_S1_PKS1_PKT0_21rocsparse_index_base_PKT1_PS1_PS4_S7_
; %bb.0:
	s_load_dwordx4 s[8:11], s[4:5], 0x0
	v_lshl_or_b32 v0, s6, 8, v0
	s_waitcnt lgkmcnt(0)
	s_cmp_gt_i32 s10, 0
	v_cmp_gt_i32_e32 vcc, s8, v0
	s_cselect_b64 s[0:1], -1, 0
	s_and_b64 s[0:1], vcc, s[0:1]
	s_and_saveexec_b64 s[2:3], s[0:1]
	s_cbranch_execz .LBB0_5
; %bb.1:
	s_load_dwordx4 s[16:19], s[4:5], 0x28
	s_load_dwordx2 s[0:1], s[4:5], 0x38
	v_ashrrev_i32_e32 v1, 31, v0
	v_lshlrev_b64 v[1:2], 2, v[0:1]
	s_mov_b64 s[2:3], 0
	s_waitcnt lgkmcnt(0)
	v_mov_b32_e32 v3, s17
	v_add_co_u32_e32 v1, vcc, s16, v1
	v_addc_co_u32_e32 v2, vcc, v3, v2, vcc
	global_load_dword v1, v[1:2], off
	s_load_dword s6, s[4:5], 0x40
	s_load_dwordx4 s[12:15], s[4:5], 0x10
	s_load_dword s7, s[4:5], 0x20
	v_mov_b32_e32 v3, s19
	v_mov_b32_e32 v6, s1
                                        ; implicit-def: $sgpr4_sgpr5
	s_waitcnt lgkmcnt(0)
	v_mov_b32_e32 v8, s13
	s_waitcnt vmcnt(0)
	v_subrev_u32_e32 v1, s6, v1
	v_ashrrev_i32_e32 v2, 31, v1
	v_lshlrev_b64 v[4:5], 2, v[1:2]
	v_add_co_u32_e32 v2, vcc, s18, v4
	v_addc_co_u32_e32 v3, vcc, v3, v5, vcc
	v_add_co_u32_e32 v4, vcc, s0, v4
	v_addc_co_u32_e32 v5, vcc, v6, v5, vcc
	s_branch .LBB0_3
.LBB0_2:                                ;   in Loop: Header=BB0_3 Depth=1
	s_or_b64 exec, exec, s[0:1]
	s_and_b64 s[0:1], exec, s[4:5]
	s_or_b64 s[2:3], s[0:1], s[2:3]
	s_andn2_b64 exec, exec, s[2:3]
	s_cbranch_execz .LBB0_5
.LBB0_3:                                ; =>This Inner Loop Header: Depth=1
	v_ashrrev_i32_e32 v1, 31, v0
	v_lshlrev_b64 v[6:7], 2, v[0:1]
	s_or_b64 s[4:5], s[4:5], exec
	v_add_co_u32_e32 v9, vcc, s12, v6
	v_addc_co_u32_e32 v10, vcc, v8, v7, vcc
	global_load_dword v1, v[9:10], off
	s_waitcnt vmcnt(0)
	v_subrev_u32_e32 v1, s7, v1
	v_cmp_lt_i32_e32 vcc, -1, v1
	v_cmp_gt_i32_e64 s[0:1], s9, v1
	s_and_b64 s[16:17], vcc, s[0:1]
	s_and_saveexec_b64 s[0:1], s[16:17]
	s_cbranch_execz .LBB0_2
; %bb.4:                                ;   in Loop: Header=BB0_3 Depth=1
	v_mov_b32_e32 v9, s15
	v_add_co_u32_e32 v6, vcc, s14, v6
	v_addc_co_u32_e32 v7, vcc, v9, v7, vcc
	global_load_dword v6, v[6:7], off
	v_add_u32_e32 v1, s6, v1
	s_add_i32 s10, s10, -1
	global_store_dword v[2:3], v1, off
	v_add_co_u32_e32 v2, vcc, 4, v2
	s_cmp_eq_u32 s10, 0
	v_addc_co_u32_e32 v3, vcc, 0, v3, vcc
	s_cselect_b64 s[16:17], -1, 0
	s_andn2_b64 s[4:5], s[4:5], exec
	s_and_b64 s[16:17], s[16:17], exec
	v_add_u32_e32 v0, s8, v0
	s_or_b64 s[4:5], s[4:5], s[16:17]
	s_waitcnt vmcnt(1)
	global_store_dword v[4:5], v6, off
	v_add_co_u32_e32 v4, vcc, 4, v4
	v_addc_co_u32_e32 v5, vcc, 0, v5, vcc
	s_branch .LBB0_2
.LBB0_5:
	s_endpgm
	.section	.rodata,"a",@progbits
	.p2align	6, 0x0
	.amdhsa_kernel _ZN9rocsparseL12ell2csr_fillILj256EfiiEEvT2_S1_S1_PKS1_PKT0_21rocsparse_index_base_PKT1_PS1_PS4_S7_
		.amdhsa_group_segment_fixed_size 0
		.amdhsa_private_segment_fixed_size 0
		.amdhsa_kernarg_size 68
		.amdhsa_user_sgpr_count 6
		.amdhsa_user_sgpr_private_segment_buffer 1
		.amdhsa_user_sgpr_dispatch_ptr 0
		.amdhsa_user_sgpr_queue_ptr 0
		.amdhsa_user_sgpr_kernarg_segment_ptr 1
		.amdhsa_user_sgpr_dispatch_id 0
		.amdhsa_user_sgpr_flat_scratch_init 0
		.amdhsa_user_sgpr_private_segment_size 0
		.amdhsa_uses_dynamic_stack 0
		.amdhsa_system_sgpr_private_segment_wavefront_offset 0
		.amdhsa_system_sgpr_workgroup_id_x 1
		.amdhsa_system_sgpr_workgroup_id_y 0
		.amdhsa_system_sgpr_workgroup_id_z 0
		.amdhsa_system_sgpr_workgroup_info 0
		.amdhsa_system_vgpr_workitem_id 0
		.amdhsa_next_free_vgpr 11
		.amdhsa_next_free_sgpr 20
		.amdhsa_reserve_vcc 1
		.amdhsa_reserve_flat_scratch 0
		.amdhsa_float_round_mode_32 0
		.amdhsa_float_round_mode_16_64 0
		.amdhsa_float_denorm_mode_32 3
		.amdhsa_float_denorm_mode_16_64 3
		.amdhsa_dx10_clamp 1
		.amdhsa_ieee_mode 1
		.amdhsa_fp16_overflow 0
		.amdhsa_exception_fp_ieee_invalid_op 0
		.amdhsa_exception_fp_denorm_src 0
		.amdhsa_exception_fp_ieee_div_zero 0
		.amdhsa_exception_fp_ieee_overflow 0
		.amdhsa_exception_fp_ieee_underflow 0
		.amdhsa_exception_fp_ieee_inexact 0
		.amdhsa_exception_int_div_zero 0
	.end_amdhsa_kernel
	.section	.text._ZN9rocsparseL12ell2csr_fillILj256EfiiEEvT2_S1_S1_PKS1_PKT0_21rocsparse_index_base_PKT1_PS1_PS4_S7_,"axG",@progbits,_ZN9rocsparseL12ell2csr_fillILj256EfiiEEvT2_S1_S1_PKS1_PKT0_21rocsparse_index_base_PKT1_PS1_PS4_S7_,comdat
.Lfunc_end0:
	.size	_ZN9rocsparseL12ell2csr_fillILj256EfiiEEvT2_S1_S1_PKS1_PKT0_21rocsparse_index_base_PKT1_PS1_PS4_S7_, .Lfunc_end0-_ZN9rocsparseL12ell2csr_fillILj256EfiiEEvT2_S1_S1_PKS1_PKT0_21rocsparse_index_base_PKT1_PS1_PS4_S7_
                                        ; -- End function
	.set _ZN9rocsparseL12ell2csr_fillILj256EfiiEEvT2_S1_S1_PKS1_PKT0_21rocsparse_index_base_PKT1_PS1_PS4_S7_.num_vgpr, 11
	.set _ZN9rocsparseL12ell2csr_fillILj256EfiiEEvT2_S1_S1_PKS1_PKT0_21rocsparse_index_base_PKT1_PS1_PS4_S7_.num_agpr, 0
	.set _ZN9rocsparseL12ell2csr_fillILj256EfiiEEvT2_S1_S1_PKS1_PKT0_21rocsparse_index_base_PKT1_PS1_PS4_S7_.numbered_sgpr, 20
	.set _ZN9rocsparseL12ell2csr_fillILj256EfiiEEvT2_S1_S1_PKS1_PKT0_21rocsparse_index_base_PKT1_PS1_PS4_S7_.num_named_barrier, 0
	.set _ZN9rocsparseL12ell2csr_fillILj256EfiiEEvT2_S1_S1_PKS1_PKT0_21rocsparse_index_base_PKT1_PS1_PS4_S7_.private_seg_size, 0
	.set _ZN9rocsparseL12ell2csr_fillILj256EfiiEEvT2_S1_S1_PKS1_PKT0_21rocsparse_index_base_PKT1_PS1_PS4_S7_.uses_vcc, 1
	.set _ZN9rocsparseL12ell2csr_fillILj256EfiiEEvT2_S1_S1_PKS1_PKT0_21rocsparse_index_base_PKT1_PS1_PS4_S7_.uses_flat_scratch, 0
	.set _ZN9rocsparseL12ell2csr_fillILj256EfiiEEvT2_S1_S1_PKS1_PKT0_21rocsparse_index_base_PKT1_PS1_PS4_S7_.has_dyn_sized_stack, 0
	.set _ZN9rocsparseL12ell2csr_fillILj256EfiiEEvT2_S1_S1_PKS1_PKT0_21rocsparse_index_base_PKT1_PS1_PS4_S7_.has_recursion, 0
	.set _ZN9rocsparseL12ell2csr_fillILj256EfiiEEvT2_S1_S1_PKS1_PKT0_21rocsparse_index_base_PKT1_PS1_PS4_S7_.has_indirect_call, 0
	.section	.AMDGPU.csdata,"",@progbits
; Kernel info:
; codeLenInByte = 360
; TotalNumSgprs: 24
; NumVgprs: 11
; ScratchSize: 0
; MemoryBound: 0
; FloatMode: 240
; IeeeMode: 1
; LDSByteSize: 0 bytes/workgroup (compile time only)
; SGPRBlocks: 2
; VGPRBlocks: 2
; NumSGPRsForWavesPerEU: 24
; NumVGPRsForWavesPerEU: 11
; Occupancy: 10
; WaveLimiterHint : 0
; COMPUTE_PGM_RSRC2:SCRATCH_EN: 0
; COMPUTE_PGM_RSRC2:USER_SGPR: 6
; COMPUTE_PGM_RSRC2:TRAP_HANDLER: 0
; COMPUTE_PGM_RSRC2:TGID_X_EN: 1
; COMPUTE_PGM_RSRC2:TGID_Y_EN: 0
; COMPUTE_PGM_RSRC2:TGID_Z_EN: 0
; COMPUTE_PGM_RSRC2:TIDIG_COMP_CNT: 0
	.section	.text._ZN9rocsparseL12ell2csr_fillILj256E21rocsparse_complex_numIfEiiEEvT2_S3_S3_PKS3_PKT0_21rocsparse_index_base_PKT1_PS3_PS6_S9_,"axG",@progbits,_ZN9rocsparseL12ell2csr_fillILj256E21rocsparse_complex_numIfEiiEEvT2_S3_S3_PKS3_PKT0_21rocsparse_index_base_PKT1_PS3_PS6_S9_,comdat
	.globl	_ZN9rocsparseL12ell2csr_fillILj256E21rocsparse_complex_numIfEiiEEvT2_S3_S3_PKS3_PKT0_21rocsparse_index_base_PKT1_PS3_PS6_S9_ ; -- Begin function _ZN9rocsparseL12ell2csr_fillILj256E21rocsparse_complex_numIfEiiEEvT2_S3_S3_PKS3_PKT0_21rocsparse_index_base_PKT1_PS3_PS6_S9_
	.p2align	8
	.type	_ZN9rocsparseL12ell2csr_fillILj256E21rocsparse_complex_numIfEiiEEvT2_S3_S3_PKS3_PKT0_21rocsparse_index_base_PKT1_PS3_PS6_S9_,@function
_ZN9rocsparseL12ell2csr_fillILj256E21rocsparse_complex_numIfEiiEEvT2_S3_S3_PKS3_PKT0_21rocsparse_index_base_PKT1_PS3_PS6_S9_: ; @_ZN9rocsparseL12ell2csr_fillILj256E21rocsparse_complex_numIfEiiEEvT2_S3_S3_PKS3_PKT0_21rocsparse_index_base_PKT1_PS3_PS6_S9_
; %bb.0:
	s_load_dwordx4 s[8:11], s[4:5], 0x0
	v_lshl_or_b32 v0, s6, 8, v0
	s_waitcnt lgkmcnt(0)
	s_cmp_gt_i32 s10, 0
	v_cmp_gt_i32_e32 vcc, s8, v0
	s_cselect_b64 s[0:1], -1, 0
	s_and_b64 s[0:1], vcc, s[0:1]
	s_and_saveexec_b64 s[2:3], s[0:1]
	s_cbranch_execz .LBB1_5
; %bb.1:
	s_load_dwordx4 s[16:19], s[4:5], 0x28
	s_load_dwordx2 s[0:1], s[4:5], 0x38
	v_ashrrev_i32_e32 v1, 31, v0
	v_lshlrev_b64 v[1:2], 2, v[0:1]
	s_mov_b64 s[2:3], 0
	s_waitcnt lgkmcnt(0)
	v_mov_b32_e32 v3, s17
	v_add_co_u32_e32 v1, vcc, s16, v1
	v_addc_co_u32_e32 v2, vcc, v3, v2, vcc
	global_load_dword v1, v[1:2], off
	s_load_dword s6, s[4:5], 0x40
	s_load_dwordx4 s[12:15], s[4:5], 0x10
	s_load_dword s7, s[4:5], 0x20
	v_mov_b32_e32 v7, s19
	v_mov_b32_e32 v8, s1
                                        ; implicit-def: $sgpr4_sgpr5
	s_waitcnt vmcnt(0) lgkmcnt(0)
	v_subrev_u32_e32 v1, s6, v1
	v_ashrrev_i32_e32 v2, 31, v1
	v_lshlrev_b64 v[3:4], 2, v[1:2]
	v_lshlrev_b64 v[5:6], 3, v[1:2]
	v_add_co_u32_e32 v2, vcc, s18, v3
	v_addc_co_u32_e32 v3, vcc, v7, v4, vcc
	v_add_co_u32_e32 v4, vcc, s0, v5
	v_addc_co_u32_e32 v5, vcc, v8, v6, vcc
	v_mov_b32_e32 v6, s13
	s_branch .LBB1_3
.LBB1_2:                                ;   in Loop: Header=BB1_3 Depth=1
	s_or_b64 exec, exec, s[0:1]
	s_and_b64 s[0:1], exec, s[4:5]
	s_or_b64 s[2:3], s[0:1], s[2:3]
	s_andn2_b64 exec, exec, s[2:3]
	s_cbranch_execz .LBB1_5
.LBB1_3:                                ; =>This Inner Loop Header: Depth=1
	v_ashrrev_i32_e32 v1, 31, v0
	v_lshlrev_b64 v[7:8], 2, v[0:1]
	s_or_b64 s[4:5], s[4:5], exec
	v_add_co_u32_e32 v7, vcc, s12, v7
	v_addc_co_u32_e32 v8, vcc, v6, v8, vcc
	global_load_dword v7, v[7:8], off
	s_waitcnt vmcnt(0)
	v_subrev_u32_e32 v7, s7, v7
	v_cmp_lt_i32_e32 vcc, -1, v7
	v_cmp_gt_i32_e64 s[0:1], s9, v7
	s_and_b64 s[16:17], vcc, s[0:1]
	s_and_saveexec_b64 s[0:1], s[16:17]
	s_cbranch_execz .LBB1_2
; %bb.4:                                ;   in Loop: Header=BB1_3 Depth=1
	v_add_u32_e32 v7, s6, v7
	global_store_dword v[2:3], v7, off
	v_lshlrev_b64 v[7:8], 3, v[0:1]
	v_mov_b32_e32 v1, s15
	v_add_co_u32_e32 v7, vcc, s14, v7
	v_addc_co_u32_e32 v8, vcc, v1, v8, vcc
	global_load_dwordx2 v[7:8], v[7:8], off
	s_add_i32 s10, s10, -1
	v_add_co_u32_e32 v2, vcc, 4, v2
	s_cmp_eq_u32 s10, 0
	v_addc_co_u32_e32 v3, vcc, 0, v3, vcc
	s_cselect_b64 s[16:17], -1, 0
	s_andn2_b64 s[4:5], s[4:5], exec
	s_and_b64 s[16:17], s[16:17], exec
	v_add_u32_e32 v0, s8, v0
	s_or_b64 s[4:5], s[4:5], s[16:17]
	s_waitcnt vmcnt(0)
	global_store_dwordx2 v[4:5], v[7:8], off
	v_add_co_u32_e32 v4, vcc, 8, v4
	v_addc_co_u32_e32 v5, vcc, 0, v5, vcc
	s_branch .LBB1_2
.LBB1_5:
	s_endpgm
	.section	.rodata,"a",@progbits
	.p2align	6, 0x0
	.amdhsa_kernel _ZN9rocsparseL12ell2csr_fillILj256E21rocsparse_complex_numIfEiiEEvT2_S3_S3_PKS3_PKT0_21rocsparse_index_base_PKT1_PS3_PS6_S9_
		.amdhsa_group_segment_fixed_size 0
		.amdhsa_private_segment_fixed_size 0
		.amdhsa_kernarg_size 68
		.amdhsa_user_sgpr_count 6
		.amdhsa_user_sgpr_private_segment_buffer 1
		.amdhsa_user_sgpr_dispatch_ptr 0
		.amdhsa_user_sgpr_queue_ptr 0
		.amdhsa_user_sgpr_kernarg_segment_ptr 1
		.amdhsa_user_sgpr_dispatch_id 0
		.amdhsa_user_sgpr_flat_scratch_init 0
		.amdhsa_user_sgpr_private_segment_size 0
		.amdhsa_uses_dynamic_stack 0
		.amdhsa_system_sgpr_private_segment_wavefront_offset 0
		.amdhsa_system_sgpr_workgroup_id_x 1
		.amdhsa_system_sgpr_workgroup_id_y 0
		.amdhsa_system_sgpr_workgroup_id_z 0
		.amdhsa_system_sgpr_workgroup_info 0
		.amdhsa_system_vgpr_workitem_id 0
		.amdhsa_next_free_vgpr 9
		.amdhsa_next_free_sgpr 20
		.amdhsa_reserve_vcc 1
		.amdhsa_reserve_flat_scratch 0
		.amdhsa_float_round_mode_32 0
		.amdhsa_float_round_mode_16_64 0
		.amdhsa_float_denorm_mode_32 3
		.amdhsa_float_denorm_mode_16_64 3
		.amdhsa_dx10_clamp 1
		.amdhsa_ieee_mode 1
		.amdhsa_fp16_overflow 0
		.amdhsa_exception_fp_ieee_invalid_op 0
		.amdhsa_exception_fp_denorm_src 0
		.amdhsa_exception_fp_ieee_div_zero 0
		.amdhsa_exception_fp_ieee_overflow 0
		.amdhsa_exception_fp_ieee_underflow 0
		.amdhsa_exception_fp_ieee_inexact 0
		.amdhsa_exception_int_div_zero 0
	.end_amdhsa_kernel
	.section	.text._ZN9rocsparseL12ell2csr_fillILj256E21rocsparse_complex_numIfEiiEEvT2_S3_S3_PKS3_PKT0_21rocsparse_index_base_PKT1_PS3_PS6_S9_,"axG",@progbits,_ZN9rocsparseL12ell2csr_fillILj256E21rocsparse_complex_numIfEiiEEvT2_S3_S3_PKS3_PKT0_21rocsparse_index_base_PKT1_PS3_PS6_S9_,comdat
.Lfunc_end1:
	.size	_ZN9rocsparseL12ell2csr_fillILj256E21rocsparse_complex_numIfEiiEEvT2_S3_S3_PKS3_PKT0_21rocsparse_index_base_PKT1_PS3_PS6_S9_, .Lfunc_end1-_ZN9rocsparseL12ell2csr_fillILj256E21rocsparse_complex_numIfEiiEEvT2_S3_S3_PKS3_PKT0_21rocsparse_index_base_PKT1_PS3_PS6_S9_
                                        ; -- End function
	.set _ZN9rocsparseL12ell2csr_fillILj256E21rocsparse_complex_numIfEiiEEvT2_S3_S3_PKS3_PKT0_21rocsparse_index_base_PKT1_PS3_PS6_S9_.num_vgpr, 9
	.set _ZN9rocsparseL12ell2csr_fillILj256E21rocsparse_complex_numIfEiiEEvT2_S3_S3_PKS3_PKT0_21rocsparse_index_base_PKT1_PS3_PS6_S9_.num_agpr, 0
	.set _ZN9rocsparseL12ell2csr_fillILj256E21rocsparse_complex_numIfEiiEEvT2_S3_S3_PKS3_PKT0_21rocsparse_index_base_PKT1_PS3_PS6_S9_.numbered_sgpr, 20
	.set _ZN9rocsparseL12ell2csr_fillILj256E21rocsparse_complex_numIfEiiEEvT2_S3_S3_PKS3_PKT0_21rocsparse_index_base_PKT1_PS3_PS6_S9_.num_named_barrier, 0
	.set _ZN9rocsparseL12ell2csr_fillILj256E21rocsparse_complex_numIfEiiEEvT2_S3_S3_PKS3_PKT0_21rocsparse_index_base_PKT1_PS3_PS6_S9_.private_seg_size, 0
	.set _ZN9rocsparseL12ell2csr_fillILj256E21rocsparse_complex_numIfEiiEEvT2_S3_S3_PKS3_PKT0_21rocsparse_index_base_PKT1_PS3_PS6_S9_.uses_vcc, 1
	.set _ZN9rocsparseL12ell2csr_fillILj256E21rocsparse_complex_numIfEiiEEvT2_S3_S3_PKS3_PKT0_21rocsparse_index_base_PKT1_PS3_PS6_S9_.uses_flat_scratch, 0
	.set _ZN9rocsparseL12ell2csr_fillILj256E21rocsparse_complex_numIfEiiEEvT2_S3_S3_PKS3_PKT0_21rocsparse_index_base_PKT1_PS3_PS6_S9_.has_dyn_sized_stack, 0
	.set _ZN9rocsparseL12ell2csr_fillILj256E21rocsparse_complex_numIfEiiEEvT2_S3_S3_PKS3_PKT0_21rocsparse_index_base_PKT1_PS3_PS6_S9_.has_recursion, 0
	.set _ZN9rocsparseL12ell2csr_fillILj256E21rocsparse_complex_numIfEiiEEvT2_S3_S3_PKS3_PKT0_21rocsparse_index_base_PKT1_PS3_PS6_S9_.has_indirect_call, 0
	.section	.AMDGPU.csdata,"",@progbits
; Kernel info:
; codeLenInByte = 372
; TotalNumSgprs: 24
; NumVgprs: 9
; ScratchSize: 0
; MemoryBound: 0
; FloatMode: 240
; IeeeMode: 1
; LDSByteSize: 0 bytes/workgroup (compile time only)
; SGPRBlocks: 2
; VGPRBlocks: 2
; NumSGPRsForWavesPerEU: 24
; NumVGPRsForWavesPerEU: 9
; Occupancy: 10
; WaveLimiterHint : 0
; COMPUTE_PGM_RSRC2:SCRATCH_EN: 0
; COMPUTE_PGM_RSRC2:USER_SGPR: 6
; COMPUTE_PGM_RSRC2:TRAP_HANDLER: 0
; COMPUTE_PGM_RSRC2:TGID_X_EN: 1
; COMPUTE_PGM_RSRC2:TGID_Y_EN: 0
; COMPUTE_PGM_RSRC2:TGID_Z_EN: 0
; COMPUTE_PGM_RSRC2:TIDIG_COMP_CNT: 0
	.section	.text._ZN9rocsparseL12ell2csr_fillILj256EdiiEEvT2_S1_S1_PKS1_PKT0_21rocsparse_index_base_PKT1_PS1_PS4_S7_,"axG",@progbits,_ZN9rocsparseL12ell2csr_fillILj256EdiiEEvT2_S1_S1_PKS1_PKT0_21rocsparse_index_base_PKT1_PS1_PS4_S7_,comdat
	.globl	_ZN9rocsparseL12ell2csr_fillILj256EdiiEEvT2_S1_S1_PKS1_PKT0_21rocsparse_index_base_PKT1_PS1_PS4_S7_ ; -- Begin function _ZN9rocsparseL12ell2csr_fillILj256EdiiEEvT2_S1_S1_PKS1_PKT0_21rocsparse_index_base_PKT1_PS1_PS4_S7_
	.p2align	8
	.type	_ZN9rocsparseL12ell2csr_fillILj256EdiiEEvT2_S1_S1_PKS1_PKT0_21rocsparse_index_base_PKT1_PS1_PS4_S7_,@function
_ZN9rocsparseL12ell2csr_fillILj256EdiiEEvT2_S1_S1_PKS1_PKT0_21rocsparse_index_base_PKT1_PS1_PS4_S7_: ; @_ZN9rocsparseL12ell2csr_fillILj256EdiiEEvT2_S1_S1_PKS1_PKT0_21rocsparse_index_base_PKT1_PS1_PS4_S7_
; %bb.0:
	s_load_dwordx4 s[8:11], s[4:5], 0x0
	v_lshl_or_b32 v0, s6, 8, v0
	s_waitcnt lgkmcnt(0)
	s_cmp_gt_i32 s10, 0
	v_cmp_gt_i32_e32 vcc, s8, v0
	s_cselect_b64 s[0:1], -1, 0
	s_and_b64 s[0:1], vcc, s[0:1]
	s_and_saveexec_b64 s[2:3], s[0:1]
	s_cbranch_execz .LBB2_5
; %bb.1:
	s_load_dwordx4 s[16:19], s[4:5], 0x28
	s_load_dwordx2 s[0:1], s[4:5], 0x38
	v_ashrrev_i32_e32 v1, 31, v0
	v_lshlrev_b64 v[1:2], 2, v[0:1]
	s_mov_b64 s[2:3], 0
	s_waitcnt lgkmcnt(0)
	v_mov_b32_e32 v3, s17
	v_add_co_u32_e32 v1, vcc, s16, v1
	v_addc_co_u32_e32 v2, vcc, v3, v2, vcc
	global_load_dword v1, v[1:2], off
	s_load_dword s6, s[4:5], 0x40
	s_load_dwordx4 s[12:15], s[4:5], 0x10
	s_load_dword s7, s[4:5], 0x20
	v_mov_b32_e32 v7, s19
	v_mov_b32_e32 v8, s1
                                        ; implicit-def: $sgpr4_sgpr5
	s_waitcnt vmcnt(0) lgkmcnt(0)
	v_subrev_u32_e32 v1, s6, v1
	v_ashrrev_i32_e32 v2, 31, v1
	v_lshlrev_b64 v[3:4], 2, v[1:2]
	v_lshlrev_b64 v[5:6], 3, v[1:2]
	v_add_co_u32_e32 v2, vcc, s18, v3
	v_addc_co_u32_e32 v3, vcc, v7, v4, vcc
	v_add_co_u32_e32 v4, vcc, s0, v5
	v_addc_co_u32_e32 v5, vcc, v8, v6, vcc
	v_mov_b32_e32 v6, s13
	s_branch .LBB2_3
.LBB2_2:                                ;   in Loop: Header=BB2_3 Depth=1
	s_or_b64 exec, exec, s[0:1]
	s_and_b64 s[0:1], exec, s[4:5]
	s_or_b64 s[2:3], s[0:1], s[2:3]
	s_andn2_b64 exec, exec, s[2:3]
	s_cbranch_execz .LBB2_5
.LBB2_3:                                ; =>This Inner Loop Header: Depth=1
	v_ashrrev_i32_e32 v1, 31, v0
	v_lshlrev_b64 v[7:8], 2, v[0:1]
	s_or_b64 s[4:5], s[4:5], exec
	v_add_co_u32_e32 v7, vcc, s12, v7
	v_addc_co_u32_e32 v8, vcc, v6, v8, vcc
	global_load_dword v7, v[7:8], off
	s_waitcnt vmcnt(0)
	v_subrev_u32_e32 v7, s7, v7
	v_cmp_lt_i32_e32 vcc, -1, v7
	v_cmp_gt_i32_e64 s[0:1], s9, v7
	s_and_b64 s[16:17], vcc, s[0:1]
	s_and_saveexec_b64 s[0:1], s[16:17]
	s_cbranch_execz .LBB2_2
; %bb.4:                                ;   in Loop: Header=BB2_3 Depth=1
	v_lshlrev_b64 v[8:9], 3, v[0:1]
	v_mov_b32_e32 v1, s15
	v_add_co_u32_e32 v8, vcc, s14, v8
	v_addc_co_u32_e32 v9, vcc, v1, v9, vcc
	global_load_dwordx2 v[8:9], v[8:9], off
	v_add_u32_e32 v1, s6, v7
	s_add_i32 s10, s10, -1
	global_store_dword v[2:3], v1, off
	v_add_co_u32_e32 v2, vcc, 4, v2
	s_cmp_eq_u32 s10, 0
	v_addc_co_u32_e32 v3, vcc, 0, v3, vcc
	s_cselect_b64 s[16:17], -1, 0
	s_andn2_b64 s[4:5], s[4:5], exec
	s_and_b64 s[16:17], s[16:17], exec
	v_add_u32_e32 v0, s8, v0
	s_or_b64 s[4:5], s[4:5], s[16:17]
	s_waitcnt vmcnt(1)
	global_store_dwordx2 v[4:5], v[8:9], off
	v_add_co_u32_e32 v4, vcc, 8, v4
	v_addc_co_u32_e32 v5, vcc, 0, v5, vcc
	s_branch .LBB2_2
.LBB2_5:
	s_endpgm
	.section	.rodata,"a",@progbits
	.p2align	6, 0x0
	.amdhsa_kernel _ZN9rocsparseL12ell2csr_fillILj256EdiiEEvT2_S1_S1_PKS1_PKT0_21rocsparse_index_base_PKT1_PS1_PS4_S7_
		.amdhsa_group_segment_fixed_size 0
		.amdhsa_private_segment_fixed_size 0
		.amdhsa_kernarg_size 68
		.amdhsa_user_sgpr_count 6
		.amdhsa_user_sgpr_private_segment_buffer 1
		.amdhsa_user_sgpr_dispatch_ptr 0
		.amdhsa_user_sgpr_queue_ptr 0
		.amdhsa_user_sgpr_kernarg_segment_ptr 1
		.amdhsa_user_sgpr_dispatch_id 0
		.amdhsa_user_sgpr_flat_scratch_init 0
		.amdhsa_user_sgpr_private_segment_size 0
		.amdhsa_uses_dynamic_stack 0
		.amdhsa_system_sgpr_private_segment_wavefront_offset 0
		.amdhsa_system_sgpr_workgroup_id_x 1
		.amdhsa_system_sgpr_workgroup_id_y 0
		.amdhsa_system_sgpr_workgroup_id_z 0
		.amdhsa_system_sgpr_workgroup_info 0
		.amdhsa_system_vgpr_workitem_id 0
		.amdhsa_next_free_vgpr 10
		.amdhsa_next_free_sgpr 20
		.amdhsa_reserve_vcc 1
		.amdhsa_reserve_flat_scratch 0
		.amdhsa_float_round_mode_32 0
		.amdhsa_float_round_mode_16_64 0
		.amdhsa_float_denorm_mode_32 3
		.amdhsa_float_denorm_mode_16_64 3
		.amdhsa_dx10_clamp 1
		.amdhsa_ieee_mode 1
		.amdhsa_fp16_overflow 0
		.amdhsa_exception_fp_ieee_invalid_op 0
		.amdhsa_exception_fp_denorm_src 0
		.amdhsa_exception_fp_ieee_div_zero 0
		.amdhsa_exception_fp_ieee_overflow 0
		.amdhsa_exception_fp_ieee_underflow 0
		.amdhsa_exception_fp_ieee_inexact 0
		.amdhsa_exception_int_div_zero 0
	.end_amdhsa_kernel
	.section	.text._ZN9rocsparseL12ell2csr_fillILj256EdiiEEvT2_S1_S1_PKS1_PKT0_21rocsparse_index_base_PKT1_PS1_PS4_S7_,"axG",@progbits,_ZN9rocsparseL12ell2csr_fillILj256EdiiEEvT2_S1_S1_PKS1_PKT0_21rocsparse_index_base_PKT1_PS1_PS4_S7_,comdat
.Lfunc_end2:
	.size	_ZN9rocsparseL12ell2csr_fillILj256EdiiEEvT2_S1_S1_PKS1_PKT0_21rocsparse_index_base_PKT1_PS1_PS4_S7_, .Lfunc_end2-_ZN9rocsparseL12ell2csr_fillILj256EdiiEEvT2_S1_S1_PKS1_PKT0_21rocsparse_index_base_PKT1_PS1_PS4_S7_
                                        ; -- End function
	.set _ZN9rocsparseL12ell2csr_fillILj256EdiiEEvT2_S1_S1_PKS1_PKT0_21rocsparse_index_base_PKT1_PS1_PS4_S7_.num_vgpr, 10
	.set _ZN9rocsparseL12ell2csr_fillILj256EdiiEEvT2_S1_S1_PKS1_PKT0_21rocsparse_index_base_PKT1_PS1_PS4_S7_.num_agpr, 0
	.set _ZN9rocsparseL12ell2csr_fillILj256EdiiEEvT2_S1_S1_PKS1_PKT0_21rocsparse_index_base_PKT1_PS1_PS4_S7_.numbered_sgpr, 20
	.set _ZN9rocsparseL12ell2csr_fillILj256EdiiEEvT2_S1_S1_PKS1_PKT0_21rocsparse_index_base_PKT1_PS1_PS4_S7_.num_named_barrier, 0
	.set _ZN9rocsparseL12ell2csr_fillILj256EdiiEEvT2_S1_S1_PKS1_PKT0_21rocsparse_index_base_PKT1_PS1_PS4_S7_.private_seg_size, 0
	.set _ZN9rocsparseL12ell2csr_fillILj256EdiiEEvT2_S1_S1_PKS1_PKT0_21rocsparse_index_base_PKT1_PS1_PS4_S7_.uses_vcc, 1
	.set _ZN9rocsparseL12ell2csr_fillILj256EdiiEEvT2_S1_S1_PKS1_PKT0_21rocsparse_index_base_PKT1_PS1_PS4_S7_.uses_flat_scratch, 0
	.set _ZN9rocsparseL12ell2csr_fillILj256EdiiEEvT2_S1_S1_PKS1_PKT0_21rocsparse_index_base_PKT1_PS1_PS4_S7_.has_dyn_sized_stack, 0
	.set _ZN9rocsparseL12ell2csr_fillILj256EdiiEEvT2_S1_S1_PKS1_PKT0_21rocsparse_index_base_PKT1_PS1_PS4_S7_.has_recursion, 0
	.set _ZN9rocsparseL12ell2csr_fillILj256EdiiEEvT2_S1_S1_PKS1_PKT0_21rocsparse_index_base_PKT1_PS1_PS4_S7_.has_indirect_call, 0
	.section	.AMDGPU.csdata,"",@progbits
; Kernel info:
; codeLenInByte = 372
; TotalNumSgprs: 24
; NumVgprs: 10
; ScratchSize: 0
; MemoryBound: 0
; FloatMode: 240
; IeeeMode: 1
; LDSByteSize: 0 bytes/workgroup (compile time only)
; SGPRBlocks: 2
; VGPRBlocks: 2
; NumSGPRsForWavesPerEU: 24
; NumVGPRsForWavesPerEU: 10
; Occupancy: 10
; WaveLimiterHint : 0
; COMPUTE_PGM_RSRC2:SCRATCH_EN: 0
; COMPUTE_PGM_RSRC2:USER_SGPR: 6
; COMPUTE_PGM_RSRC2:TRAP_HANDLER: 0
; COMPUTE_PGM_RSRC2:TGID_X_EN: 1
; COMPUTE_PGM_RSRC2:TGID_Y_EN: 0
; COMPUTE_PGM_RSRC2:TGID_Z_EN: 0
; COMPUTE_PGM_RSRC2:TIDIG_COMP_CNT: 0
	.section	.text._ZN9rocsparseL12ell2csr_fillILj256E21rocsparse_complex_numIdEiiEEvT2_S3_S3_PKS3_PKT0_21rocsparse_index_base_PKT1_PS3_PS6_S9_,"axG",@progbits,_ZN9rocsparseL12ell2csr_fillILj256E21rocsparse_complex_numIdEiiEEvT2_S3_S3_PKS3_PKT0_21rocsparse_index_base_PKT1_PS3_PS6_S9_,comdat
	.globl	_ZN9rocsparseL12ell2csr_fillILj256E21rocsparse_complex_numIdEiiEEvT2_S3_S3_PKS3_PKT0_21rocsparse_index_base_PKT1_PS3_PS6_S9_ ; -- Begin function _ZN9rocsparseL12ell2csr_fillILj256E21rocsparse_complex_numIdEiiEEvT2_S3_S3_PKS3_PKT0_21rocsparse_index_base_PKT1_PS3_PS6_S9_
	.p2align	8
	.type	_ZN9rocsparseL12ell2csr_fillILj256E21rocsparse_complex_numIdEiiEEvT2_S3_S3_PKS3_PKT0_21rocsparse_index_base_PKT1_PS3_PS6_S9_,@function
_ZN9rocsparseL12ell2csr_fillILj256E21rocsparse_complex_numIdEiiEEvT2_S3_S3_PKS3_PKT0_21rocsparse_index_base_PKT1_PS3_PS6_S9_: ; @_ZN9rocsparseL12ell2csr_fillILj256E21rocsparse_complex_numIdEiiEEvT2_S3_S3_PKS3_PKT0_21rocsparse_index_base_PKT1_PS3_PS6_S9_
; %bb.0:
	s_load_dwordx4 s[8:11], s[4:5], 0x0
	v_lshl_or_b32 v0, s6, 8, v0
	s_waitcnt lgkmcnt(0)
	s_cmp_gt_i32 s10, 0
	v_cmp_gt_i32_e32 vcc, s8, v0
	s_cselect_b64 s[0:1], -1, 0
	s_and_b64 s[0:1], vcc, s[0:1]
	s_and_saveexec_b64 s[2:3], s[0:1]
	s_cbranch_execz .LBB3_5
; %bb.1:
	s_load_dwordx4 s[16:19], s[4:5], 0x28
	s_load_dwordx2 s[0:1], s[4:5], 0x38
	v_ashrrev_i32_e32 v1, 31, v0
	v_lshlrev_b64 v[1:2], 2, v[0:1]
	s_mov_b64 s[2:3], 0
	s_waitcnt lgkmcnt(0)
	v_mov_b32_e32 v3, s17
	v_add_co_u32_e32 v1, vcc, s16, v1
	v_addc_co_u32_e32 v2, vcc, v3, v2, vcc
	global_load_dword v1, v[1:2], off
	s_load_dword s6, s[4:5], 0x40
	s_load_dwordx4 s[12:15], s[4:5], 0x10
	s_load_dword s7, s[4:5], 0x20
	v_mov_b32_e32 v7, s19
	v_mov_b32_e32 v8, s1
                                        ; implicit-def: $sgpr4_sgpr5
	s_waitcnt vmcnt(0) lgkmcnt(0)
	v_subrev_u32_e32 v1, s6, v1
	v_ashrrev_i32_e32 v2, 31, v1
	v_lshlrev_b64 v[3:4], 2, v[1:2]
	v_lshlrev_b64 v[5:6], 4, v[1:2]
	v_add_co_u32_e32 v2, vcc, s18, v3
	v_addc_co_u32_e32 v3, vcc, v7, v4, vcc
	v_add_co_u32_e32 v4, vcc, s0, v5
	v_addc_co_u32_e32 v5, vcc, v8, v6, vcc
	v_mov_b32_e32 v6, s13
	s_branch .LBB3_3
.LBB3_2:                                ;   in Loop: Header=BB3_3 Depth=1
	s_or_b64 exec, exec, s[0:1]
	s_and_b64 s[0:1], exec, s[4:5]
	s_or_b64 s[2:3], s[0:1], s[2:3]
	s_andn2_b64 exec, exec, s[2:3]
	s_cbranch_execz .LBB3_5
.LBB3_3:                                ; =>This Inner Loop Header: Depth=1
	v_ashrrev_i32_e32 v1, 31, v0
	v_lshlrev_b64 v[7:8], 2, v[0:1]
	s_or_b64 s[4:5], s[4:5], exec
	v_add_co_u32_e32 v7, vcc, s12, v7
	v_addc_co_u32_e32 v8, vcc, v6, v8, vcc
	global_load_dword v7, v[7:8], off
	s_waitcnt vmcnt(0)
	v_subrev_u32_e32 v7, s7, v7
	v_cmp_lt_i32_e32 vcc, -1, v7
	v_cmp_gt_i32_e64 s[0:1], s9, v7
	s_and_b64 s[16:17], vcc, s[0:1]
	s_and_saveexec_b64 s[0:1], s[16:17]
	s_cbranch_execz .LBB3_2
; %bb.4:                                ;   in Loop: Header=BB3_3 Depth=1
	v_add_u32_e32 v7, s6, v7
	global_store_dword v[2:3], v7, off
	v_lshlrev_b64 v[7:8], 4, v[0:1]
	v_mov_b32_e32 v1, s15
	v_add_co_u32_e32 v7, vcc, s14, v7
	v_addc_co_u32_e32 v8, vcc, v1, v8, vcc
	global_load_dwordx4 v[7:10], v[7:8], off
	s_add_i32 s10, s10, -1
	v_add_co_u32_e32 v2, vcc, 4, v2
	s_cmp_eq_u32 s10, 0
	v_addc_co_u32_e32 v3, vcc, 0, v3, vcc
	s_cselect_b64 s[16:17], -1, 0
	s_andn2_b64 s[4:5], s[4:5], exec
	s_and_b64 s[16:17], s[16:17], exec
	v_add_u32_e32 v0, s8, v0
	s_or_b64 s[4:5], s[4:5], s[16:17]
	s_waitcnt vmcnt(0)
	global_store_dwordx4 v[4:5], v[7:10], off
	v_add_co_u32_e32 v4, vcc, 16, v4
	v_addc_co_u32_e32 v5, vcc, 0, v5, vcc
	s_branch .LBB3_2
.LBB3_5:
	s_endpgm
	.section	.rodata,"a",@progbits
	.p2align	6, 0x0
	.amdhsa_kernel _ZN9rocsparseL12ell2csr_fillILj256E21rocsparse_complex_numIdEiiEEvT2_S3_S3_PKS3_PKT0_21rocsparse_index_base_PKT1_PS3_PS6_S9_
		.amdhsa_group_segment_fixed_size 0
		.amdhsa_private_segment_fixed_size 0
		.amdhsa_kernarg_size 68
		.amdhsa_user_sgpr_count 6
		.amdhsa_user_sgpr_private_segment_buffer 1
		.amdhsa_user_sgpr_dispatch_ptr 0
		.amdhsa_user_sgpr_queue_ptr 0
		.amdhsa_user_sgpr_kernarg_segment_ptr 1
		.amdhsa_user_sgpr_dispatch_id 0
		.amdhsa_user_sgpr_flat_scratch_init 0
		.amdhsa_user_sgpr_private_segment_size 0
		.amdhsa_uses_dynamic_stack 0
		.amdhsa_system_sgpr_private_segment_wavefront_offset 0
		.amdhsa_system_sgpr_workgroup_id_x 1
		.amdhsa_system_sgpr_workgroup_id_y 0
		.amdhsa_system_sgpr_workgroup_id_z 0
		.amdhsa_system_sgpr_workgroup_info 0
		.amdhsa_system_vgpr_workitem_id 0
		.amdhsa_next_free_vgpr 11
		.amdhsa_next_free_sgpr 20
		.amdhsa_reserve_vcc 1
		.amdhsa_reserve_flat_scratch 0
		.amdhsa_float_round_mode_32 0
		.amdhsa_float_round_mode_16_64 0
		.amdhsa_float_denorm_mode_32 3
		.amdhsa_float_denorm_mode_16_64 3
		.amdhsa_dx10_clamp 1
		.amdhsa_ieee_mode 1
		.amdhsa_fp16_overflow 0
		.amdhsa_exception_fp_ieee_invalid_op 0
		.amdhsa_exception_fp_denorm_src 0
		.amdhsa_exception_fp_ieee_div_zero 0
		.amdhsa_exception_fp_ieee_overflow 0
		.amdhsa_exception_fp_ieee_underflow 0
		.amdhsa_exception_fp_ieee_inexact 0
		.amdhsa_exception_int_div_zero 0
	.end_amdhsa_kernel
	.section	.text._ZN9rocsparseL12ell2csr_fillILj256E21rocsparse_complex_numIdEiiEEvT2_S3_S3_PKS3_PKT0_21rocsparse_index_base_PKT1_PS3_PS6_S9_,"axG",@progbits,_ZN9rocsparseL12ell2csr_fillILj256E21rocsparse_complex_numIdEiiEEvT2_S3_S3_PKS3_PKT0_21rocsparse_index_base_PKT1_PS3_PS6_S9_,comdat
.Lfunc_end3:
	.size	_ZN9rocsparseL12ell2csr_fillILj256E21rocsparse_complex_numIdEiiEEvT2_S3_S3_PKS3_PKT0_21rocsparse_index_base_PKT1_PS3_PS6_S9_, .Lfunc_end3-_ZN9rocsparseL12ell2csr_fillILj256E21rocsparse_complex_numIdEiiEEvT2_S3_S3_PKS3_PKT0_21rocsparse_index_base_PKT1_PS3_PS6_S9_
                                        ; -- End function
	.set _ZN9rocsparseL12ell2csr_fillILj256E21rocsparse_complex_numIdEiiEEvT2_S3_S3_PKS3_PKT0_21rocsparse_index_base_PKT1_PS3_PS6_S9_.num_vgpr, 11
	.set _ZN9rocsparseL12ell2csr_fillILj256E21rocsparse_complex_numIdEiiEEvT2_S3_S3_PKS3_PKT0_21rocsparse_index_base_PKT1_PS3_PS6_S9_.num_agpr, 0
	.set _ZN9rocsparseL12ell2csr_fillILj256E21rocsparse_complex_numIdEiiEEvT2_S3_S3_PKS3_PKT0_21rocsparse_index_base_PKT1_PS3_PS6_S9_.numbered_sgpr, 20
	.set _ZN9rocsparseL12ell2csr_fillILj256E21rocsparse_complex_numIdEiiEEvT2_S3_S3_PKS3_PKT0_21rocsparse_index_base_PKT1_PS3_PS6_S9_.num_named_barrier, 0
	.set _ZN9rocsparseL12ell2csr_fillILj256E21rocsparse_complex_numIdEiiEEvT2_S3_S3_PKS3_PKT0_21rocsparse_index_base_PKT1_PS3_PS6_S9_.private_seg_size, 0
	.set _ZN9rocsparseL12ell2csr_fillILj256E21rocsparse_complex_numIdEiiEEvT2_S3_S3_PKS3_PKT0_21rocsparse_index_base_PKT1_PS3_PS6_S9_.uses_vcc, 1
	.set _ZN9rocsparseL12ell2csr_fillILj256E21rocsparse_complex_numIdEiiEEvT2_S3_S3_PKS3_PKT0_21rocsparse_index_base_PKT1_PS3_PS6_S9_.uses_flat_scratch, 0
	.set _ZN9rocsparseL12ell2csr_fillILj256E21rocsparse_complex_numIdEiiEEvT2_S3_S3_PKS3_PKT0_21rocsparse_index_base_PKT1_PS3_PS6_S9_.has_dyn_sized_stack, 0
	.set _ZN9rocsparseL12ell2csr_fillILj256E21rocsparse_complex_numIdEiiEEvT2_S3_S3_PKS3_PKT0_21rocsparse_index_base_PKT1_PS3_PS6_S9_.has_recursion, 0
	.set _ZN9rocsparseL12ell2csr_fillILj256E21rocsparse_complex_numIdEiiEEvT2_S3_S3_PKS3_PKT0_21rocsparse_index_base_PKT1_PS3_PS6_S9_.has_indirect_call, 0
	.section	.AMDGPU.csdata,"",@progbits
; Kernel info:
; codeLenInByte = 372
; TotalNumSgprs: 24
; NumVgprs: 11
; ScratchSize: 0
; MemoryBound: 0
; FloatMode: 240
; IeeeMode: 1
; LDSByteSize: 0 bytes/workgroup (compile time only)
; SGPRBlocks: 2
; VGPRBlocks: 2
; NumSGPRsForWavesPerEU: 24
; NumVGPRsForWavesPerEU: 11
; Occupancy: 10
; WaveLimiterHint : 0
; COMPUTE_PGM_RSRC2:SCRATCH_EN: 0
; COMPUTE_PGM_RSRC2:USER_SGPR: 6
; COMPUTE_PGM_RSRC2:TRAP_HANDLER: 0
; COMPUTE_PGM_RSRC2:TGID_X_EN: 1
; COMPUTE_PGM_RSRC2:TGID_Y_EN: 0
; COMPUTE_PGM_RSRC2:TGID_Z_EN: 0
; COMPUTE_PGM_RSRC2:TIDIG_COMP_CNT: 0
	.section	.text._ZN9rocsparseL12ell2csr_fillILj256EfliEEvT2_S1_S1_PKS1_PKT0_21rocsparse_index_base_PKT1_PS1_PS4_S7_,"axG",@progbits,_ZN9rocsparseL12ell2csr_fillILj256EfliEEvT2_S1_S1_PKS1_PKT0_21rocsparse_index_base_PKT1_PS1_PS4_S7_,comdat
	.globl	_ZN9rocsparseL12ell2csr_fillILj256EfliEEvT2_S1_S1_PKS1_PKT0_21rocsparse_index_base_PKT1_PS1_PS4_S7_ ; -- Begin function _ZN9rocsparseL12ell2csr_fillILj256EfliEEvT2_S1_S1_PKS1_PKT0_21rocsparse_index_base_PKT1_PS1_PS4_S7_
	.p2align	8
	.type	_ZN9rocsparseL12ell2csr_fillILj256EfliEEvT2_S1_S1_PKS1_PKT0_21rocsparse_index_base_PKT1_PS1_PS4_S7_,@function
_ZN9rocsparseL12ell2csr_fillILj256EfliEEvT2_S1_S1_PKS1_PKT0_21rocsparse_index_base_PKT1_PS1_PS4_S7_: ; @_ZN9rocsparseL12ell2csr_fillILj256EfliEEvT2_S1_S1_PKS1_PKT0_21rocsparse_index_base_PKT1_PS1_PS4_S7_
; %bb.0:
	s_load_dwordx4 s[8:11], s[4:5], 0x0
	v_lshl_or_b32 v0, s6, 8, v0
	s_mov_b32 s7, 0
	s_waitcnt lgkmcnt(0)
	s_cmp_gt_i32 s10, 0
	v_cmp_gt_i32_e32 vcc, s8, v0
	s_cselect_b64 s[0:1], -1, 0
	s_and_b64 s[0:1], vcc, s[0:1]
	s_and_saveexec_b64 s[2:3], s[0:1]
	s_cbranch_execz .LBB4_5
; %bb.1:
	s_load_dwordx4 s[0:3], s[4:5], 0x28
	s_load_dwordx2 s[16:17], s[4:5], 0x38
	v_ashrrev_i32_e32 v1, 31, v0
	v_lshlrev_b64 v[1:2], 3, v[0:1]
	s_waitcnt lgkmcnt(0)
	v_mov_b32_e32 v3, s1
	v_add_co_u32_e32 v1, vcc, s0, v1
	v_addc_co_u32_e32 v2, vcc, v3, v2, vcc
	global_load_dwordx2 v[1:2], v[1:2], off
	s_load_dword s6, s[4:5], 0x40
	s_load_dwordx4 s[12:15], s[4:5], 0x10
	s_load_dword s11, s[4:5], 0x20
	v_mov_b32_e32 v3, s17
	v_mov_b32_e32 v5, s3
	s_waitcnt lgkmcnt(0)
	s_lshl_b64 s[0:1], s[6:7], 2
	v_mov_b32_e32 v4, s1
	s_mov_b64 s[4:5], 0
	v_mov_b32_e32 v8, s13
	s_waitcnt vmcnt(0)
	v_lshlrev_b64 v[1:2], 2, v[1:2]
	v_subrev_co_u32_e32 v1, vcc, s0, v1
	v_subb_co_u32_e32 v6, vcc, v2, v4, vcc
	v_add_co_u32_e32 v2, vcc, s16, v1
	v_addc_co_u32_e32 v3, vcc, v3, v6, vcc
	v_add_co_u32_e32 v4, vcc, s2, v1
	v_addc_co_u32_e32 v5, vcc, v5, v6, vcc
                                        ; implicit-def: $sgpr2_sgpr3
	s_branch .LBB4_3
.LBB4_2:                                ;   in Loop: Header=BB4_3 Depth=1
	s_or_b64 exec, exec, s[0:1]
	s_and_b64 s[0:1], exec, s[2:3]
	s_or_b64 s[4:5], s[0:1], s[4:5]
	s_andn2_b64 exec, exec, s[4:5]
	s_cbranch_execz .LBB4_5
.LBB4_3:                                ; =>This Inner Loop Header: Depth=1
	v_ashrrev_i32_e32 v1, 31, v0
	v_lshlrev_b64 v[6:7], 2, v[0:1]
	s_or_b64 s[2:3], s[2:3], exec
	v_add_co_u32_e32 v9, vcc, s12, v6
	v_addc_co_u32_e32 v10, vcc, v8, v7, vcc
	global_load_dword v1, v[9:10], off
	s_waitcnt vmcnt(0)
	v_subrev_u32_e32 v1, s11, v1
	v_cmp_lt_i32_e32 vcc, -1, v1
	v_cmp_gt_i32_e64 s[0:1], s9, v1
	s_and_b64 s[16:17], vcc, s[0:1]
	s_and_saveexec_b64 s[0:1], s[16:17]
	s_cbranch_execz .LBB4_2
; %bb.4:                                ;   in Loop: Header=BB4_3 Depth=1
	v_mov_b32_e32 v9, s15
	v_add_co_u32_e32 v6, vcc, s14, v6
	v_addc_co_u32_e32 v7, vcc, v9, v7, vcc
	global_load_dword v6, v[6:7], off
	v_add_u32_e32 v1, s6, v1
	s_add_i32 s10, s10, -1
	global_store_dword v[4:5], v1, off
	v_add_co_u32_e32 v4, vcc, 4, v4
	s_cmp_eq_u32 s10, 0
	v_addc_co_u32_e32 v5, vcc, 0, v5, vcc
	s_cselect_b64 s[16:17], -1, 0
	s_andn2_b64 s[2:3], s[2:3], exec
	s_and_b64 s[16:17], s[16:17], exec
	v_add_u32_e32 v0, s8, v0
	s_or_b64 s[2:3], s[2:3], s[16:17]
	s_waitcnt vmcnt(1)
	global_store_dword v[2:3], v6, off
	v_add_co_u32_e32 v2, vcc, 4, v2
	v_addc_co_u32_e32 v3, vcc, 0, v3, vcc
	s_branch .LBB4_2
.LBB4_5:
	s_endpgm
	.section	.rodata,"a",@progbits
	.p2align	6, 0x0
	.amdhsa_kernel _ZN9rocsparseL12ell2csr_fillILj256EfliEEvT2_S1_S1_PKS1_PKT0_21rocsparse_index_base_PKT1_PS1_PS4_S7_
		.amdhsa_group_segment_fixed_size 0
		.amdhsa_private_segment_fixed_size 0
		.amdhsa_kernarg_size 68
		.amdhsa_user_sgpr_count 6
		.amdhsa_user_sgpr_private_segment_buffer 1
		.amdhsa_user_sgpr_dispatch_ptr 0
		.amdhsa_user_sgpr_queue_ptr 0
		.amdhsa_user_sgpr_kernarg_segment_ptr 1
		.amdhsa_user_sgpr_dispatch_id 0
		.amdhsa_user_sgpr_flat_scratch_init 0
		.amdhsa_user_sgpr_private_segment_size 0
		.amdhsa_uses_dynamic_stack 0
		.amdhsa_system_sgpr_private_segment_wavefront_offset 0
		.amdhsa_system_sgpr_workgroup_id_x 1
		.amdhsa_system_sgpr_workgroup_id_y 0
		.amdhsa_system_sgpr_workgroup_id_z 0
		.amdhsa_system_sgpr_workgroup_info 0
		.amdhsa_system_vgpr_workitem_id 0
		.amdhsa_next_free_vgpr 11
		.amdhsa_next_free_sgpr 18
		.amdhsa_reserve_vcc 1
		.amdhsa_reserve_flat_scratch 0
		.amdhsa_float_round_mode_32 0
		.amdhsa_float_round_mode_16_64 0
		.amdhsa_float_denorm_mode_32 3
		.amdhsa_float_denorm_mode_16_64 3
		.amdhsa_dx10_clamp 1
		.amdhsa_ieee_mode 1
		.amdhsa_fp16_overflow 0
		.amdhsa_exception_fp_ieee_invalid_op 0
		.amdhsa_exception_fp_denorm_src 0
		.amdhsa_exception_fp_ieee_div_zero 0
		.amdhsa_exception_fp_ieee_overflow 0
		.amdhsa_exception_fp_ieee_underflow 0
		.amdhsa_exception_fp_ieee_inexact 0
		.amdhsa_exception_int_div_zero 0
	.end_amdhsa_kernel
	.section	.text._ZN9rocsparseL12ell2csr_fillILj256EfliEEvT2_S1_S1_PKS1_PKT0_21rocsparse_index_base_PKT1_PS1_PS4_S7_,"axG",@progbits,_ZN9rocsparseL12ell2csr_fillILj256EfliEEvT2_S1_S1_PKS1_PKT0_21rocsparse_index_base_PKT1_PS1_PS4_S7_,comdat
.Lfunc_end4:
	.size	_ZN9rocsparseL12ell2csr_fillILj256EfliEEvT2_S1_S1_PKS1_PKT0_21rocsparse_index_base_PKT1_PS1_PS4_S7_, .Lfunc_end4-_ZN9rocsparseL12ell2csr_fillILj256EfliEEvT2_S1_S1_PKS1_PKT0_21rocsparse_index_base_PKT1_PS1_PS4_S7_
                                        ; -- End function
	.set _ZN9rocsparseL12ell2csr_fillILj256EfliEEvT2_S1_S1_PKS1_PKT0_21rocsparse_index_base_PKT1_PS1_PS4_S7_.num_vgpr, 11
	.set _ZN9rocsparseL12ell2csr_fillILj256EfliEEvT2_S1_S1_PKS1_PKT0_21rocsparse_index_base_PKT1_PS1_PS4_S7_.num_agpr, 0
	.set _ZN9rocsparseL12ell2csr_fillILj256EfliEEvT2_S1_S1_PKS1_PKT0_21rocsparse_index_base_PKT1_PS1_PS4_S7_.numbered_sgpr, 18
	.set _ZN9rocsparseL12ell2csr_fillILj256EfliEEvT2_S1_S1_PKS1_PKT0_21rocsparse_index_base_PKT1_PS1_PS4_S7_.num_named_barrier, 0
	.set _ZN9rocsparseL12ell2csr_fillILj256EfliEEvT2_S1_S1_PKS1_PKT0_21rocsparse_index_base_PKT1_PS1_PS4_S7_.private_seg_size, 0
	.set _ZN9rocsparseL12ell2csr_fillILj256EfliEEvT2_S1_S1_PKS1_PKT0_21rocsparse_index_base_PKT1_PS1_PS4_S7_.uses_vcc, 1
	.set _ZN9rocsparseL12ell2csr_fillILj256EfliEEvT2_S1_S1_PKS1_PKT0_21rocsparse_index_base_PKT1_PS1_PS4_S7_.uses_flat_scratch, 0
	.set _ZN9rocsparseL12ell2csr_fillILj256EfliEEvT2_S1_S1_PKS1_PKT0_21rocsparse_index_base_PKT1_PS1_PS4_S7_.has_dyn_sized_stack, 0
	.set _ZN9rocsparseL12ell2csr_fillILj256EfliEEvT2_S1_S1_PKS1_PKT0_21rocsparse_index_base_PKT1_PS1_PS4_S7_.has_recursion, 0
	.set _ZN9rocsparseL12ell2csr_fillILj256EfliEEvT2_S1_S1_PKS1_PKT0_21rocsparse_index_base_PKT1_PS1_PS4_S7_.has_indirect_call, 0
	.section	.AMDGPU.csdata,"",@progbits
; Kernel info:
; codeLenInByte = 372
; TotalNumSgprs: 22
; NumVgprs: 11
; ScratchSize: 0
; MemoryBound: 0
; FloatMode: 240
; IeeeMode: 1
; LDSByteSize: 0 bytes/workgroup (compile time only)
; SGPRBlocks: 2
; VGPRBlocks: 2
; NumSGPRsForWavesPerEU: 22
; NumVGPRsForWavesPerEU: 11
; Occupancy: 10
; WaveLimiterHint : 0
; COMPUTE_PGM_RSRC2:SCRATCH_EN: 0
; COMPUTE_PGM_RSRC2:USER_SGPR: 6
; COMPUTE_PGM_RSRC2:TRAP_HANDLER: 0
; COMPUTE_PGM_RSRC2:TGID_X_EN: 1
; COMPUTE_PGM_RSRC2:TGID_Y_EN: 0
; COMPUTE_PGM_RSRC2:TGID_Z_EN: 0
; COMPUTE_PGM_RSRC2:TIDIG_COMP_CNT: 0
	.section	.text._ZN9rocsparseL12ell2csr_fillILj256E21rocsparse_complex_numIfEliEEvT2_S3_S3_PKS3_PKT0_21rocsparse_index_base_PKT1_PS3_PS6_S9_,"axG",@progbits,_ZN9rocsparseL12ell2csr_fillILj256E21rocsparse_complex_numIfEliEEvT2_S3_S3_PKS3_PKT0_21rocsparse_index_base_PKT1_PS3_PS6_S9_,comdat
	.globl	_ZN9rocsparseL12ell2csr_fillILj256E21rocsparse_complex_numIfEliEEvT2_S3_S3_PKS3_PKT0_21rocsparse_index_base_PKT1_PS3_PS6_S9_ ; -- Begin function _ZN9rocsparseL12ell2csr_fillILj256E21rocsparse_complex_numIfEliEEvT2_S3_S3_PKS3_PKT0_21rocsparse_index_base_PKT1_PS3_PS6_S9_
	.p2align	8
	.type	_ZN9rocsparseL12ell2csr_fillILj256E21rocsparse_complex_numIfEliEEvT2_S3_S3_PKS3_PKT0_21rocsparse_index_base_PKT1_PS3_PS6_S9_,@function
_ZN9rocsparseL12ell2csr_fillILj256E21rocsparse_complex_numIfEliEEvT2_S3_S3_PKS3_PKT0_21rocsparse_index_base_PKT1_PS3_PS6_S9_: ; @_ZN9rocsparseL12ell2csr_fillILj256E21rocsparse_complex_numIfEliEEvT2_S3_S3_PKS3_PKT0_21rocsparse_index_base_PKT1_PS3_PS6_S9_
; %bb.0:
	s_load_dwordx4 s[8:11], s[4:5], 0x0
	v_lshl_or_b32 v0, s6, 8, v0
	s_mov_b32 s7, 0
	s_waitcnt lgkmcnt(0)
	s_cmp_gt_i32 s10, 0
	v_cmp_gt_i32_e32 vcc, s8, v0
	s_cselect_b64 s[0:1], -1, 0
	s_and_b64 s[0:1], vcc, s[0:1]
	s_and_saveexec_b64 s[2:3], s[0:1]
	s_cbranch_execz .LBB5_5
; %bb.1:
	s_load_dwordx4 s[0:3], s[4:5], 0x28
	s_load_dwordx2 s[16:17], s[4:5], 0x38
	v_ashrrev_i32_e32 v1, 31, v0
	v_lshlrev_b64 v[1:2], 3, v[0:1]
	s_waitcnt lgkmcnt(0)
	v_mov_b32_e32 v3, s1
	v_add_co_u32_e32 v1, vcc, s0, v1
	v_addc_co_u32_e32 v2, vcc, v3, v2, vcc
	global_load_dwordx2 v[1:2], v[1:2], off
	s_load_dword s6, s[4:5], 0x40
	s_load_dwordx4 s[12:15], s[4:5], 0x10
	s_load_dword s11, s[4:5], 0x20
	v_mov_b32_e32 v5, s17
	v_mov_b32_e32 v6, s3
	s_waitcnt lgkmcnt(0)
	s_lshl_b64 s[0:1], s[6:7], 3
	v_mov_b32_e32 v7, s1
	s_lshl_b64 s[18:19], s[6:7], 2
	v_mov_b32_e32 v8, s19
	s_mov_b64 s[4:5], 0
	s_waitcnt vmcnt(0)
	v_lshlrev_b64 v[3:4], 3, v[1:2]
	v_lshlrev_b64 v[1:2], 2, v[1:2]
	v_subrev_co_u32_e32 v3, vcc, s0, v3
	v_subb_co_u32_e32 v4, vcc, v4, v7, vcc
	v_subrev_co_u32_e32 v1, vcc, s18, v1
	v_subb_co_u32_e32 v7, vcc, v2, v8, vcc
	v_add_co_u32_e32 v2, vcc, s16, v3
	v_addc_co_u32_e32 v3, vcc, v5, v4, vcc
	v_add_co_u32_e32 v4, vcc, s2, v1
	v_addc_co_u32_e32 v5, vcc, v6, v7, vcc
	v_mov_b32_e32 v6, s13
                                        ; implicit-def: $sgpr2_sgpr3
	s_branch .LBB5_3
.LBB5_2:                                ;   in Loop: Header=BB5_3 Depth=1
	s_or_b64 exec, exec, s[0:1]
	s_and_b64 s[0:1], exec, s[2:3]
	s_or_b64 s[4:5], s[0:1], s[4:5]
	s_andn2_b64 exec, exec, s[4:5]
	s_cbranch_execz .LBB5_5
.LBB5_3:                                ; =>This Inner Loop Header: Depth=1
	v_ashrrev_i32_e32 v1, 31, v0
	v_lshlrev_b64 v[7:8], 2, v[0:1]
	s_or_b64 s[2:3], s[2:3], exec
	v_add_co_u32_e32 v7, vcc, s12, v7
	v_addc_co_u32_e32 v8, vcc, v6, v8, vcc
	global_load_dword v7, v[7:8], off
	s_waitcnt vmcnt(0)
	v_subrev_u32_e32 v7, s11, v7
	v_cmp_lt_i32_e32 vcc, -1, v7
	v_cmp_gt_i32_e64 s[0:1], s9, v7
	s_and_b64 s[16:17], vcc, s[0:1]
	s_and_saveexec_b64 s[0:1], s[16:17]
	s_cbranch_execz .LBB5_2
; %bb.4:                                ;   in Loop: Header=BB5_3 Depth=1
	v_add_u32_e32 v7, s6, v7
	global_store_dword v[4:5], v7, off
	v_lshlrev_b64 v[7:8], 3, v[0:1]
	v_mov_b32_e32 v1, s15
	v_add_co_u32_e32 v7, vcc, s14, v7
	v_addc_co_u32_e32 v8, vcc, v1, v8, vcc
	global_load_dwordx2 v[7:8], v[7:8], off
	s_add_i32 s10, s10, -1
	v_add_co_u32_e32 v4, vcc, 4, v4
	s_cmp_eq_u32 s10, 0
	v_addc_co_u32_e32 v5, vcc, 0, v5, vcc
	s_cselect_b64 s[16:17], -1, 0
	s_andn2_b64 s[2:3], s[2:3], exec
	s_and_b64 s[16:17], s[16:17], exec
	v_add_u32_e32 v0, s8, v0
	s_or_b64 s[2:3], s[2:3], s[16:17]
	s_waitcnt vmcnt(0)
	global_store_dwordx2 v[2:3], v[7:8], off
	v_add_co_u32_e32 v2, vcc, 8, v2
	v_addc_co_u32_e32 v3, vcc, 0, v3, vcc
	s_branch .LBB5_2
.LBB5_5:
	s_endpgm
	.section	.rodata,"a",@progbits
	.p2align	6, 0x0
	.amdhsa_kernel _ZN9rocsparseL12ell2csr_fillILj256E21rocsparse_complex_numIfEliEEvT2_S3_S3_PKS3_PKT0_21rocsparse_index_base_PKT1_PS3_PS6_S9_
		.amdhsa_group_segment_fixed_size 0
		.amdhsa_private_segment_fixed_size 0
		.amdhsa_kernarg_size 68
		.amdhsa_user_sgpr_count 6
		.amdhsa_user_sgpr_private_segment_buffer 1
		.amdhsa_user_sgpr_dispatch_ptr 0
		.amdhsa_user_sgpr_queue_ptr 0
		.amdhsa_user_sgpr_kernarg_segment_ptr 1
		.amdhsa_user_sgpr_dispatch_id 0
		.amdhsa_user_sgpr_flat_scratch_init 0
		.amdhsa_user_sgpr_private_segment_size 0
		.amdhsa_uses_dynamic_stack 0
		.amdhsa_system_sgpr_private_segment_wavefront_offset 0
		.amdhsa_system_sgpr_workgroup_id_x 1
		.amdhsa_system_sgpr_workgroup_id_y 0
		.amdhsa_system_sgpr_workgroup_id_z 0
		.amdhsa_system_sgpr_workgroup_info 0
		.amdhsa_system_vgpr_workitem_id 0
		.amdhsa_next_free_vgpr 9
		.amdhsa_next_free_sgpr 20
		.amdhsa_reserve_vcc 1
		.amdhsa_reserve_flat_scratch 0
		.amdhsa_float_round_mode_32 0
		.amdhsa_float_round_mode_16_64 0
		.amdhsa_float_denorm_mode_32 3
		.amdhsa_float_denorm_mode_16_64 3
		.amdhsa_dx10_clamp 1
		.amdhsa_ieee_mode 1
		.amdhsa_fp16_overflow 0
		.amdhsa_exception_fp_ieee_invalid_op 0
		.amdhsa_exception_fp_denorm_src 0
		.amdhsa_exception_fp_ieee_div_zero 0
		.amdhsa_exception_fp_ieee_overflow 0
		.amdhsa_exception_fp_ieee_underflow 0
		.amdhsa_exception_fp_ieee_inexact 0
		.amdhsa_exception_int_div_zero 0
	.end_amdhsa_kernel
	.section	.text._ZN9rocsparseL12ell2csr_fillILj256E21rocsparse_complex_numIfEliEEvT2_S3_S3_PKS3_PKT0_21rocsparse_index_base_PKT1_PS3_PS6_S9_,"axG",@progbits,_ZN9rocsparseL12ell2csr_fillILj256E21rocsparse_complex_numIfEliEEvT2_S3_S3_PKS3_PKT0_21rocsparse_index_base_PKT1_PS3_PS6_S9_,comdat
.Lfunc_end5:
	.size	_ZN9rocsparseL12ell2csr_fillILj256E21rocsparse_complex_numIfEliEEvT2_S3_S3_PKS3_PKT0_21rocsparse_index_base_PKT1_PS3_PS6_S9_, .Lfunc_end5-_ZN9rocsparseL12ell2csr_fillILj256E21rocsparse_complex_numIfEliEEvT2_S3_S3_PKS3_PKT0_21rocsparse_index_base_PKT1_PS3_PS6_S9_
                                        ; -- End function
	.set _ZN9rocsparseL12ell2csr_fillILj256E21rocsparse_complex_numIfEliEEvT2_S3_S3_PKS3_PKT0_21rocsparse_index_base_PKT1_PS3_PS6_S9_.num_vgpr, 9
	.set _ZN9rocsparseL12ell2csr_fillILj256E21rocsparse_complex_numIfEliEEvT2_S3_S3_PKS3_PKT0_21rocsparse_index_base_PKT1_PS3_PS6_S9_.num_agpr, 0
	.set _ZN9rocsparseL12ell2csr_fillILj256E21rocsparse_complex_numIfEliEEvT2_S3_S3_PKS3_PKT0_21rocsparse_index_base_PKT1_PS3_PS6_S9_.numbered_sgpr, 20
	.set _ZN9rocsparseL12ell2csr_fillILj256E21rocsparse_complex_numIfEliEEvT2_S3_S3_PKS3_PKT0_21rocsparse_index_base_PKT1_PS3_PS6_S9_.num_named_barrier, 0
	.set _ZN9rocsparseL12ell2csr_fillILj256E21rocsparse_complex_numIfEliEEvT2_S3_S3_PKS3_PKT0_21rocsparse_index_base_PKT1_PS3_PS6_S9_.private_seg_size, 0
	.set _ZN9rocsparseL12ell2csr_fillILj256E21rocsparse_complex_numIfEliEEvT2_S3_S3_PKS3_PKT0_21rocsparse_index_base_PKT1_PS3_PS6_S9_.uses_vcc, 1
	.set _ZN9rocsparseL12ell2csr_fillILj256E21rocsparse_complex_numIfEliEEvT2_S3_S3_PKS3_PKT0_21rocsparse_index_base_PKT1_PS3_PS6_S9_.uses_flat_scratch, 0
	.set _ZN9rocsparseL12ell2csr_fillILj256E21rocsparse_complex_numIfEliEEvT2_S3_S3_PKS3_PKT0_21rocsparse_index_base_PKT1_PS3_PS6_S9_.has_dyn_sized_stack, 0
	.set _ZN9rocsparseL12ell2csr_fillILj256E21rocsparse_complex_numIfEliEEvT2_S3_S3_PKS3_PKT0_21rocsparse_index_base_PKT1_PS3_PS6_S9_.has_recursion, 0
	.set _ZN9rocsparseL12ell2csr_fillILj256E21rocsparse_complex_numIfEliEEvT2_S3_S3_PKS3_PKT0_21rocsparse_index_base_PKT1_PS3_PS6_S9_.has_indirect_call, 0
	.section	.AMDGPU.csdata,"",@progbits
; Kernel info:
; codeLenInByte = 404
; TotalNumSgprs: 24
; NumVgprs: 9
; ScratchSize: 0
; MemoryBound: 0
; FloatMode: 240
; IeeeMode: 1
; LDSByteSize: 0 bytes/workgroup (compile time only)
; SGPRBlocks: 2
; VGPRBlocks: 2
; NumSGPRsForWavesPerEU: 24
; NumVGPRsForWavesPerEU: 9
; Occupancy: 10
; WaveLimiterHint : 0
; COMPUTE_PGM_RSRC2:SCRATCH_EN: 0
; COMPUTE_PGM_RSRC2:USER_SGPR: 6
; COMPUTE_PGM_RSRC2:TRAP_HANDLER: 0
; COMPUTE_PGM_RSRC2:TGID_X_EN: 1
; COMPUTE_PGM_RSRC2:TGID_Y_EN: 0
; COMPUTE_PGM_RSRC2:TGID_Z_EN: 0
; COMPUTE_PGM_RSRC2:TIDIG_COMP_CNT: 0
	.section	.text._ZN9rocsparseL12ell2csr_fillILj256EdliEEvT2_S1_S1_PKS1_PKT0_21rocsparse_index_base_PKT1_PS1_PS4_S7_,"axG",@progbits,_ZN9rocsparseL12ell2csr_fillILj256EdliEEvT2_S1_S1_PKS1_PKT0_21rocsparse_index_base_PKT1_PS1_PS4_S7_,comdat
	.globl	_ZN9rocsparseL12ell2csr_fillILj256EdliEEvT2_S1_S1_PKS1_PKT0_21rocsparse_index_base_PKT1_PS1_PS4_S7_ ; -- Begin function _ZN9rocsparseL12ell2csr_fillILj256EdliEEvT2_S1_S1_PKS1_PKT0_21rocsparse_index_base_PKT1_PS1_PS4_S7_
	.p2align	8
	.type	_ZN9rocsparseL12ell2csr_fillILj256EdliEEvT2_S1_S1_PKS1_PKT0_21rocsparse_index_base_PKT1_PS1_PS4_S7_,@function
_ZN9rocsparseL12ell2csr_fillILj256EdliEEvT2_S1_S1_PKS1_PKT0_21rocsparse_index_base_PKT1_PS1_PS4_S7_: ; @_ZN9rocsparseL12ell2csr_fillILj256EdliEEvT2_S1_S1_PKS1_PKT0_21rocsparse_index_base_PKT1_PS1_PS4_S7_
; %bb.0:
	s_load_dwordx4 s[8:11], s[4:5], 0x0
	v_lshl_or_b32 v0, s6, 8, v0
	s_mov_b32 s7, 0
	s_waitcnt lgkmcnt(0)
	s_cmp_gt_i32 s10, 0
	v_cmp_gt_i32_e32 vcc, s8, v0
	s_cselect_b64 s[0:1], -1, 0
	s_and_b64 s[0:1], vcc, s[0:1]
	s_and_saveexec_b64 s[2:3], s[0:1]
	s_cbranch_execz .LBB6_5
; %bb.1:
	s_load_dwordx4 s[0:3], s[4:5], 0x28
	s_load_dwordx2 s[16:17], s[4:5], 0x38
	v_ashrrev_i32_e32 v1, 31, v0
	v_lshlrev_b64 v[1:2], 3, v[0:1]
	s_waitcnt lgkmcnt(0)
	v_mov_b32_e32 v3, s1
	v_add_co_u32_e32 v1, vcc, s0, v1
	v_addc_co_u32_e32 v2, vcc, v3, v2, vcc
	global_load_dwordx2 v[1:2], v[1:2], off
	s_load_dword s6, s[4:5], 0x40
	s_load_dwordx4 s[12:15], s[4:5], 0x10
	s_load_dword s11, s[4:5], 0x20
	v_mov_b32_e32 v5, s17
	v_mov_b32_e32 v6, s3
	s_waitcnt lgkmcnt(0)
	s_lshl_b64 s[0:1], s[6:7], 3
	v_mov_b32_e32 v7, s1
	s_lshl_b64 s[18:19], s[6:7], 2
	v_mov_b32_e32 v8, s19
	s_mov_b64 s[4:5], 0
	s_waitcnt vmcnt(0)
	v_lshlrev_b64 v[3:4], 3, v[1:2]
	v_lshlrev_b64 v[1:2], 2, v[1:2]
	v_subrev_co_u32_e32 v3, vcc, s0, v3
	v_subb_co_u32_e32 v4, vcc, v4, v7, vcc
	v_subrev_co_u32_e32 v1, vcc, s18, v1
	v_subb_co_u32_e32 v7, vcc, v2, v8, vcc
	v_add_co_u32_e32 v2, vcc, s16, v3
	v_addc_co_u32_e32 v3, vcc, v5, v4, vcc
	v_add_co_u32_e32 v4, vcc, s2, v1
	v_addc_co_u32_e32 v5, vcc, v6, v7, vcc
	v_mov_b32_e32 v6, s13
                                        ; implicit-def: $sgpr2_sgpr3
	s_branch .LBB6_3
.LBB6_2:                                ;   in Loop: Header=BB6_3 Depth=1
	s_or_b64 exec, exec, s[0:1]
	s_and_b64 s[0:1], exec, s[2:3]
	s_or_b64 s[4:5], s[0:1], s[4:5]
	s_andn2_b64 exec, exec, s[4:5]
	s_cbranch_execz .LBB6_5
.LBB6_3:                                ; =>This Inner Loop Header: Depth=1
	v_ashrrev_i32_e32 v1, 31, v0
	v_lshlrev_b64 v[7:8], 2, v[0:1]
	s_or_b64 s[2:3], s[2:3], exec
	v_add_co_u32_e32 v7, vcc, s12, v7
	v_addc_co_u32_e32 v8, vcc, v6, v8, vcc
	global_load_dword v7, v[7:8], off
	s_waitcnt vmcnt(0)
	v_subrev_u32_e32 v7, s11, v7
	v_cmp_lt_i32_e32 vcc, -1, v7
	v_cmp_gt_i32_e64 s[0:1], s9, v7
	s_and_b64 s[16:17], vcc, s[0:1]
	s_and_saveexec_b64 s[0:1], s[16:17]
	s_cbranch_execz .LBB6_2
; %bb.4:                                ;   in Loop: Header=BB6_3 Depth=1
	v_lshlrev_b64 v[8:9], 3, v[0:1]
	v_mov_b32_e32 v1, s15
	v_add_co_u32_e32 v8, vcc, s14, v8
	v_addc_co_u32_e32 v9, vcc, v1, v9, vcc
	global_load_dwordx2 v[8:9], v[8:9], off
	v_add_u32_e32 v1, s6, v7
	s_add_i32 s10, s10, -1
	global_store_dword v[4:5], v1, off
	v_add_co_u32_e32 v4, vcc, 4, v4
	s_cmp_eq_u32 s10, 0
	v_addc_co_u32_e32 v5, vcc, 0, v5, vcc
	s_cselect_b64 s[16:17], -1, 0
	s_andn2_b64 s[2:3], s[2:3], exec
	s_and_b64 s[16:17], s[16:17], exec
	v_add_u32_e32 v0, s8, v0
	s_or_b64 s[2:3], s[2:3], s[16:17]
	s_waitcnt vmcnt(1)
	global_store_dwordx2 v[2:3], v[8:9], off
	v_add_co_u32_e32 v2, vcc, 8, v2
	v_addc_co_u32_e32 v3, vcc, 0, v3, vcc
	s_branch .LBB6_2
.LBB6_5:
	s_endpgm
	.section	.rodata,"a",@progbits
	.p2align	6, 0x0
	.amdhsa_kernel _ZN9rocsparseL12ell2csr_fillILj256EdliEEvT2_S1_S1_PKS1_PKT0_21rocsparse_index_base_PKT1_PS1_PS4_S7_
		.amdhsa_group_segment_fixed_size 0
		.amdhsa_private_segment_fixed_size 0
		.amdhsa_kernarg_size 68
		.amdhsa_user_sgpr_count 6
		.amdhsa_user_sgpr_private_segment_buffer 1
		.amdhsa_user_sgpr_dispatch_ptr 0
		.amdhsa_user_sgpr_queue_ptr 0
		.amdhsa_user_sgpr_kernarg_segment_ptr 1
		.amdhsa_user_sgpr_dispatch_id 0
		.amdhsa_user_sgpr_flat_scratch_init 0
		.amdhsa_user_sgpr_private_segment_size 0
		.amdhsa_uses_dynamic_stack 0
		.amdhsa_system_sgpr_private_segment_wavefront_offset 0
		.amdhsa_system_sgpr_workgroup_id_x 1
		.amdhsa_system_sgpr_workgroup_id_y 0
		.amdhsa_system_sgpr_workgroup_id_z 0
		.amdhsa_system_sgpr_workgroup_info 0
		.amdhsa_system_vgpr_workitem_id 0
		.amdhsa_next_free_vgpr 10
		.amdhsa_next_free_sgpr 20
		.amdhsa_reserve_vcc 1
		.amdhsa_reserve_flat_scratch 0
		.amdhsa_float_round_mode_32 0
		.amdhsa_float_round_mode_16_64 0
		.amdhsa_float_denorm_mode_32 3
		.amdhsa_float_denorm_mode_16_64 3
		.amdhsa_dx10_clamp 1
		.amdhsa_ieee_mode 1
		.amdhsa_fp16_overflow 0
		.amdhsa_exception_fp_ieee_invalid_op 0
		.amdhsa_exception_fp_denorm_src 0
		.amdhsa_exception_fp_ieee_div_zero 0
		.amdhsa_exception_fp_ieee_overflow 0
		.amdhsa_exception_fp_ieee_underflow 0
		.amdhsa_exception_fp_ieee_inexact 0
		.amdhsa_exception_int_div_zero 0
	.end_amdhsa_kernel
	.section	.text._ZN9rocsparseL12ell2csr_fillILj256EdliEEvT2_S1_S1_PKS1_PKT0_21rocsparse_index_base_PKT1_PS1_PS4_S7_,"axG",@progbits,_ZN9rocsparseL12ell2csr_fillILj256EdliEEvT2_S1_S1_PKS1_PKT0_21rocsparse_index_base_PKT1_PS1_PS4_S7_,comdat
.Lfunc_end6:
	.size	_ZN9rocsparseL12ell2csr_fillILj256EdliEEvT2_S1_S1_PKS1_PKT0_21rocsparse_index_base_PKT1_PS1_PS4_S7_, .Lfunc_end6-_ZN9rocsparseL12ell2csr_fillILj256EdliEEvT2_S1_S1_PKS1_PKT0_21rocsparse_index_base_PKT1_PS1_PS4_S7_
                                        ; -- End function
	.set _ZN9rocsparseL12ell2csr_fillILj256EdliEEvT2_S1_S1_PKS1_PKT0_21rocsparse_index_base_PKT1_PS1_PS4_S7_.num_vgpr, 10
	.set _ZN9rocsparseL12ell2csr_fillILj256EdliEEvT2_S1_S1_PKS1_PKT0_21rocsparse_index_base_PKT1_PS1_PS4_S7_.num_agpr, 0
	.set _ZN9rocsparseL12ell2csr_fillILj256EdliEEvT2_S1_S1_PKS1_PKT0_21rocsparse_index_base_PKT1_PS1_PS4_S7_.numbered_sgpr, 20
	.set _ZN9rocsparseL12ell2csr_fillILj256EdliEEvT2_S1_S1_PKS1_PKT0_21rocsparse_index_base_PKT1_PS1_PS4_S7_.num_named_barrier, 0
	.set _ZN9rocsparseL12ell2csr_fillILj256EdliEEvT2_S1_S1_PKS1_PKT0_21rocsparse_index_base_PKT1_PS1_PS4_S7_.private_seg_size, 0
	.set _ZN9rocsparseL12ell2csr_fillILj256EdliEEvT2_S1_S1_PKS1_PKT0_21rocsparse_index_base_PKT1_PS1_PS4_S7_.uses_vcc, 1
	.set _ZN9rocsparseL12ell2csr_fillILj256EdliEEvT2_S1_S1_PKS1_PKT0_21rocsparse_index_base_PKT1_PS1_PS4_S7_.uses_flat_scratch, 0
	.set _ZN9rocsparseL12ell2csr_fillILj256EdliEEvT2_S1_S1_PKS1_PKT0_21rocsparse_index_base_PKT1_PS1_PS4_S7_.has_dyn_sized_stack, 0
	.set _ZN9rocsparseL12ell2csr_fillILj256EdliEEvT2_S1_S1_PKS1_PKT0_21rocsparse_index_base_PKT1_PS1_PS4_S7_.has_recursion, 0
	.set _ZN9rocsparseL12ell2csr_fillILj256EdliEEvT2_S1_S1_PKS1_PKT0_21rocsparse_index_base_PKT1_PS1_PS4_S7_.has_indirect_call, 0
	.section	.AMDGPU.csdata,"",@progbits
; Kernel info:
; codeLenInByte = 404
; TotalNumSgprs: 24
; NumVgprs: 10
; ScratchSize: 0
; MemoryBound: 0
; FloatMode: 240
; IeeeMode: 1
; LDSByteSize: 0 bytes/workgroup (compile time only)
; SGPRBlocks: 2
; VGPRBlocks: 2
; NumSGPRsForWavesPerEU: 24
; NumVGPRsForWavesPerEU: 10
; Occupancy: 10
; WaveLimiterHint : 0
; COMPUTE_PGM_RSRC2:SCRATCH_EN: 0
; COMPUTE_PGM_RSRC2:USER_SGPR: 6
; COMPUTE_PGM_RSRC2:TRAP_HANDLER: 0
; COMPUTE_PGM_RSRC2:TGID_X_EN: 1
; COMPUTE_PGM_RSRC2:TGID_Y_EN: 0
; COMPUTE_PGM_RSRC2:TGID_Z_EN: 0
; COMPUTE_PGM_RSRC2:TIDIG_COMP_CNT: 0
	.section	.text._ZN9rocsparseL12ell2csr_fillILj256E21rocsparse_complex_numIdEliEEvT2_S3_S3_PKS3_PKT0_21rocsparse_index_base_PKT1_PS3_PS6_S9_,"axG",@progbits,_ZN9rocsparseL12ell2csr_fillILj256E21rocsparse_complex_numIdEliEEvT2_S3_S3_PKS3_PKT0_21rocsparse_index_base_PKT1_PS3_PS6_S9_,comdat
	.globl	_ZN9rocsparseL12ell2csr_fillILj256E21rocsparse_complex_numIdEliEEvT2_S3_S3_PKS3_PKT0_21rocsparse_index_base_PKT1_PS3_PS6_S9_ ; -- Begin function _ZN9rocsparseL12ell2csr_fillILj256E21rocsparse_complex_numIdEliEEvT2_S3_S3_PKS3_PKT0_21rocsparse_index_base_PKT1_PS3_PS6_S9_
	.p2align	8
	.type	_ZN9rocsparseL12ell2csr_fillILj256E21rocsparse_complex_numIdEliEEvT2_S3_S3_PKS3_PKT0_21rocsparse_index_base_PKT1_PS3_PS6_S9_,@function
_ZN9rocsparseL12ell2csr_fillILj256E21rocsparse_complex_numIdEliEEvT2_S3_S3_PKS3_PKT0_21rocsparse_index_base_PKT1_PS3_PS6_S9_: ; @_ZN9rocsparseL12ell2csr_fillILj256E21rocsparse_complex_numIdEliEEvT2_S3_S3_PKS3_PKT0_21rocsparse_index_base_PKT1_PS3_PS6_S9_
; %bb.0:
	s_load_dwordx4 s[8:11], s[4:5], 0x0
	v_lshl_or_b32 v0, s6, 8, v0
	s_mov_b32 s7, 0
	s_waitcnt lgkmcnt(0)
	s_cmp_gt_i32 s10, 0
	v_cmp_gt_i32_e32 vcc, s8, v0
	s_cselect_b64 s[0:1], -1, 0
	s_and_b64 s[0:1], vcc, s[0:1]
	s_and_saveexec_b64 s[2:3], s[0:1]
	s_cbranch_execz .LBB7_5
; %bb.1:
	s_load_dwordx4 s[0:3], s[4:5], 0x28
	s_load_dwordx2 s[16:17], s[4:5], 0x38
	v_ashrrev_i32_e32 v1, 31, v0
	v_lshlrev_b64 v[1:2], 3, v[0:1]
	s_waitcnt lgkmcnt(0)
	v_mov_b32_e32 v3, s1
	v_add_co_u32_e32 v1, vcc, s0, v1
	v_addc_co_u32_e32 v2, vcc, v3, v2, vcc
	global_load_dwordx2 v[1:2], v[1:2], off
	s_load_dword s6, s[4:5], 0x40
	s_load_dwordx4 s[12:15], s[4:5], 0x10
	s_load_dword s11, s[4:5], 0x20
	v_mov_b32_e32 v5, s17
	v_mov_b32_e32 v6, s3
	s_waitcnt lgkmcnt(0)
	s_lshl_b64 s[0:1], s[6:7], 4
	v_mov_b32_e32 v7, s1
	s_lshl_b64 s[18:19], s[6:7], 2
	v_mov_b32_e32 v8, s19
	s_mov_b64 s[4:5], 0
	s_waitcnt vmcnt(0)
	v_lshlrev_b64 v[3:4], 4, v[1:2]
	v_lshlrev_b64 v[1:2], 2, v[1:2]
	v_subrev_co_u32_e32 v3, vcc, s0, v3
	v_subb_co_u32_e32 v4, vcc, v4, v7, vcc
	v_subrev_co_u32_e32 v1, vcc, s18, v1
	v_subb_co_u32_e32 v7, vcc, v2, v8, vcc
	v_add_co_u32_e32 v2, vcc, s16, v3
	v_addc_co_u32_e32 v3, vcc, v5, v4, vcc
	v_add_co_u32_e32 v4, vcc, s2, v1
	v_addc_co_u32_e32 v5, vcc, v6, v7, vcc
	v_mov_b32_e32 v6, s13
                                        ; implicit-def: $sgpr2_sgpr3
	s_branch .LBB7_3
.LBB7_2:                                ;   in Loop: Header=BB7_3 Depth=1
	s_or_b64 exec, exec, s[0:1]
	s_and_b64 s[0:1], exec, s[2:3]
	s_or_b64 s[4:5], s[0:1], s[4:5]
	s_andn2_b64 exec, exec, s[4:5]
	s_cbranch_execz .LBB7_5
.LBB7_3:                                ; =>This Inner Loop Header: Depth=1
	v_ashrrev_i32_e32 v1, 31, v0
	v_lshlrev_b64 v[7:8], 2, v[0:1]
	s_or_b64 s[2:3], s[2:3], exec
	v_add_co_u32_e32 v7, vcc, s12, v7
	v_addc_co_u32_e32 v8, vcc, v6, v8, vcc
	global_load_dword v7, v[7:8], off
	s_waitcnt vmcnt(0)
	v_subrev_u32_e32 v7, s11, v7
	v_cmp_lt_i32_e32 vcc, -1, v7
	v_cmp_gt_i32_e64 s[0:1], s9, v7
	s_and_b64 s[16:17], vcc, s[0:1]
	s_and_saveexec_b64 s[0:1], s[16:17]
	s_cbranch_execz .LBB7_2
; %bb.4:                                ;   in Loop: Header=BB7_3 Depth=1
	v_add_u32_e32 v7, s6, v7
	global_store_dword v[4:5], v7, off
	v_lshlrev_b64 v[7:8], 4, v[0:1]
	v_mov_b32_e32 v1, s15
	v_add_co_u32_e32 v7, vcc, s14, v7
	v_addc_co_u32_e32 v8, vcc, v1, v8, vcc
	global_load_dwordx4 v[7:10], v[7:8], off
	s_add_i32 s10, s10, -1
	v_add_co_u32_e32 v4, vcc, 4, v4
	s_cmp_eq_u32 s10, 0
	v_addc_co_u32_e32 v5, vcc, 0, v5, vcc
	s_cselect_b64 s[16:17], -1, 0
	s_andn2_b64 s[2:3], s[2:3], exec
	s_and_b64 s[16:17], s[16:17], exec
	v_add_u32_e32 v0, s8, v0
	s_or_b64 s[2:3], s[2:3], s[16:17]
	s_waitcnt vmcnt(0)
	global_store_dwordx4 v[2:3], v[7:10], off
	v_add_co_u32_e32 v2, vcc, 16, v2
	v_addc_co_u32_e32 v3, vcc, 0, v3, vcc
	s_branch .LBB7_2
.LBB7_5:
	s_endpgm
	.section	.rodata,"a",@progbits
	.p2align	6, 0x0
	.amdhsa_kernel _ZN9rocsparseL12ell2csr_fillILj256E21rocsparse_complex_numIdEliEEvT2_S3_S3_PKS3_PKT0_21rocsparse_index_base_PKT1_PS3_PS6_S9_
		.amdhsa_group_segment_fixed_size 0
		.amdhsa_private_segment_fixed_size 0
		.amdhsa_kernarg_size 68
		.amdhsa_user_sgpr_count 6
		.amdhsa_user_sgpr_private_segment_buffer 1
		.amdhsa_user_sgpr_dispatch_ptr 0
		.amdhsa_user_sgpr_queue_ptr 0
		.amdhsa_user_sgpr_kernarg_segment_ptr 1
		.amdhsa_user_sgpr_dispatch_id 0
		.amdhsa_user_sgpr_flat_scratch_init 0
		.amdhsa_user_sgpr_private_segment_size 0
		.amdhsa_uses_dynamic_stack 0
		.amdhsa_system_sgpr_private_segment_wavefront_offset 0
		.amdhsa_system_sgpr_workgroup_id_x 1
		.amdhsa_system_sgpr_workgroup_id_y 0
		.amdhsa_system_sgpr_workgroup_id_z 0
		.amdhsa_system_sgpr_workgroup_info 0
		.amdhsa_system_vgpr_workitem_id 0
		.amdhsa_next_free_vgpr 11
		.amdhsa_next_free_sgpr 20
		.amdhsa_reserve_vcc 1
		.amdhsa_reserve_flat_scratch 0
		.amdhsa_float_round_mode_32 0
		.amdhsa_float_round_mode_16_64 0
		.amdhsa_float_denorm_mode_32 3
		.amdhsa_float_denorm_mode_16_64 3
		.amdhsa_dx10_clamp 1
		.amdhsa_ieee_mode 1
		.amdhsa_fp16_overflow 0
		.amdhsa_exception_fp_ieee_invalid_op 0
		.amdhsa_exception_fp_denorm_src 0
		.amdhsa_exception_fp_ieee_div_zero 0
		.amdhsa_exception_fp_ieee_overflow 0
		.amdhsa_exception_fp_ieee_underflow 0
		.amdhsa_exception_fp_ieee_inexact 0
		.amdhsa_exception_int_div_zero 0
	.end_amdhsa_kernel
	.section	.text._ZN9rocsparseL12ell2csr_fillILj256E21rocsparse_complex_numIdEliEEvT2_S3_S3_PKS3_PKT0_21rocsparse_index_base_PKT1_PS3_PS6_S9_,"axG",@progbits,_ZN9rocsparseL12ell2csr_fillILj256E21rocsparse_complex_numIdEliEEvT2_S3_S3_PKS3_PKT0_21rocsparse_index_base_PKT1_PS3_PS6_S9_,comdat
.Lfunc_end7:
	.size	_ZN9rocsparseL12ell2csr_fillILj256E21rocsparse_complex_numIdEliEEvT2_S3_S3_PKS3_PKT0_21rocsparse_index_base_PKT1_PS3_PS6_S9_, .Lfunc_end7-_ZN9rocsparseL12ell2csr_fillILj256E21rocsparse_complex_numIdEliEEvT2_S3_S3_PKS3_PKT0_21rocsparse_index_base_PKT1_PS3_PS6_S9_
                                        ; -- End function
	.set _ZN9rocsparseL12ell2csr_fillILj256E21rocsparse_complex_numIdEliEEvT2_S3_S3_PKS3_PKT0_21rocsparse_index_base_PKT1_PS3_PS6_S9_.num_vgpr, 11
	.set _ZN9rocsparseL12ell2csr_fillILj256E21rocsparse_complex_numIdEliEEvT2_S3_S3_PKS3_PKT0_21rocsparse_index_base_PKT1_PS3_PS6_S9_.num_agpr, 0
	.set _ZN9rocsparseL12ell2csr_fillILj256E21rocsparse_complex_numIdEliEEvT2_S3_S3_PKS3_PKT0_21rocsparse_index_base_PKT1_PS3_PS6_S9_.numbered_sgpr, 20
	.set _ZN9rocsparseL12ell2csr_fillILj256E21rocsparse_complex_numIdEliEEvT2_S3_S3_PKS3_PKT0_21rocsparse_index_base_PKT1_PS3_PS6_S9_.num_named_barrier, 0
	.set _ZN9rocsparseL12ell2csr_fillILj256E21rocsparse_complex_numIdEliEEvT2_S3_S3_PKS3_PKT0_21rocsparse_index_base_PKT1_PS3_PS6_S9_.private_seg_size, 0
	.set _ZN9rocsparseL12ell2csr_fillILj256E21rocsparse_complex_numIdEliEEvT2_S3_S3_PKS3_PKT0_21rocsparse_index_base_PKT1_PS3_PS6_S9_.uses_vcc, 1
	.set _ZN9rocsparseL12ell2csr_fillILj256E21rocsparse_complex_numIdEliEEvT2_S3_S3_PKS3_PKT0_21rocsparse_index_base_PKT1_PS3_PS6_S9_.uses_flat_scratch, 0
	.set _ZN9rocsparseL12ell2csr_fillILj256E21rocsparse_complex_numIdEliEEvT2_S3_S3_PKS3_PKT0_21rocsparse_index_base_PKT1_PS3_PS6_S9_.has_dyn_sized_stack, 0
	.set _ZN9rocsparseL12ell2csr_fillILj256E21rocsparse_complex_numIdEliEEvT2_S3_S3_PKS3_PKT0_21rocsparse_index_base_PKT1_PS3_PS6_S9_.has_recursion, 0
	.set _ZN9rocsparseL12ell2csr_fillILj256E21rocsparse_complex_numIdEliEEvT2_S3_S3_PKS3_PKT0_21rocsparse_index_base_PKT1_PS3_PS6_S9_.has_indirect_call, 0
	.section	.AMDGPU.csdata,"",@progbits
; Kernel info:
; codeLenInByte = 404
; TotalNumSgprs: 24
; NumVgprs: 11
; ScratchSize: 0
; MemoryBound: 0
; FloatMode: 240
; IeeeMode: 1
; LDSByteSize: 0 bytes/workgroup (compile time only)
; SGPRBlocks: 2
; VGPRBlocks: 2
; NumSGPRsForWavesPerEU: 24
; NumVGPRsForWavesPerEU: 11
; Occupancy: 10
; WaveLimiterHint : 0
; COMPUTE_PGM_RSRC2:SCRATCH_EN: 0
; COMPUTE_PGM_RSRC2:USER_SGPR: 6
; COMPUTE_PGM_RSRC2:TRAP_HANDLER: 0
; COMPUTE_PGM_RSRC2:TGID_X_EN: 1
; COMPUTE_PGM_RSRC2:TGID_Y_EN: 0
; COMPUTE_PGM_RSRC2:TGID_Z_EN: 0
; COMPUTE_PGM_RSRC2:TIDIG_COMP_CNT: 0
	.section	.text._ZN9rocsparseL12ell2csr_fillILj256EfilEEvT2_S1_S1_PKS1_PKT0_21rocsparse_index_base_PKT1_PS1_PS4_S7_,"axG",@progbits,_ZN9rocsparseL12ell2csr_fillILj256EfilEEvT2_S1_S1_PKS1_PKT0_21rocsparse_index_base_PKT1_PS1_PS4_S7_,comdat
	.globl	_ZN9rocsparseL12ell2csr_fillILj256EfilEEvT2_S1_S1_PKS1_PKT0_21rocsparse_index_base_PKT1_PS1_PS4_S7_ ; -- Begin function _ZN9rocsparseL12ell2csr_fillILj256EfilEEvT2_S1_S1_PKS1_PKT0_21rocsparse_index_base_PKT1_PS1_PS4_S7_
	.p2align	8
	.type	_ZN9rocsparseL12ell2csr_fillILj256EfilEEvT2_S1_S1_PKS1_PKT0_21rocsparse_index_base_PKT1_PS1_PS4_S7_,@function
_ZN9rocsparseL12ell2csr_fillILj256EfilEEvT2_S1_S1_PKS1_PKT0_21rocsparse_index_base_PKT1_PS1_PS4_S7_: ; @_ZN9rocsparseL12ell2csr_fillILj256EfilEEvT2_S1_S1_PKS1_PKT0_21rocsparse_index_base_PKT1_PS1_PS4_S7_
; %bb.0:
	s_load_dwordx4 s[8:11], s[4:5], 0x0
	s_load_dwordx2 s[2:3], s[4:5], 0x10
	v_lshl_or_b32 v0, s6, 8, v0
	v_mov_b32_e32 v1, 0
	s_mov_b64 s[6:7], 0
	s_waitcnt lgkmcnt(0)
	v_cmp_gt_i64_e32 vcc, s[8:9], v[0:1]
	v_cmp_gt_i64_e64 s[0:1], s[2:3], 0
	s_and_b64 s[0:1], vcc, s[0:1]
	s_and_saveexec_b64 s[12:13], s[0:1]
	s_cbranch_execz .LBB8_5
; %bb.1:
	s_load_dwordx4 s[16:19], s[4:5], 0x30
	v_lshlrev_b64 v[1:2], 2, v[0:1]
	s_waitcnt lgkmcnt(0)
	v_mov_b32_e32 v3, s17
	v_add_co_u32_e32 v1, vcc, s16, v1
	v_addc_co_u32_e32 v2, vcc, v3, v2, vcc
	global_load_dword v1, v[1:2], off
	s_load_dwordx2 s[0:1], s[4:5], 0x40
	s_load_dword s9, s[4:5], 0x48
	s_load_dwordx4 s[12:15], s[4:5], 0x18
	s_load_dword s16, s[4:5], 0x28
	v_mov_b32_e32 v7, s19
	s_waitcnt lgkmcnt(0)
	v_mov_b32_e32 v8, s1
                                        ; implicit-def: $sgpr4_sgpr5
	s_waitcnt vmcnt(0)
	v_subrev_u32_e32 v1, s9, v1
	v_ashrrev_i32_e32 v2, 31, v1
	v_lshlrev_b64 v[3:4], 3, v[1:2]
	v_lshlrev_b64 v[5:6], 2, v[1:2]
	v_add_co_u32_e32 v2, vcc, s18, v3
	v_addc_co_u32_e32 v3, vcc, v7, v4, vcc
	v_add_co_u32_e32 v4, vcc, s0, v5
	v_addc_co_u32_e32 v5, vcc, v8, v6, vcc
	v_mov_b32_e32 v8, s13
	s_branch .LBB8_3
.LBB8_2:                                ;   in Loop: Header=BB8_3 Depth=1
	s_or_b64 exec, exec, s[0:1]
	s_and_b64 s[0:1], exec, s[4:5]
	s_or_b64 s[6:7], s[0:1], s[6:7]
	s_andn2_b64 exec, exec, s[6:7]
	s_cbranch_execz .LBB8_5
.LBB8_3:                                ; =>This Inner Loop Header: Depth=1
	v_ashrrev_i32_e32 v1, 31, v0
	v_lshlrev_b64 v[6:7], 3, v[0:1]
	s_or_b64 s[4:5], s[4:5], exec
	v_add_co_u32_e32 v6, vcc, s12, v6
	v_addc_co_u32_e32 v7, vcc, v8, v7, vcc
	global_load_dwordx2 v[6:7], v[6:7], off
	s_waitcnt vmcnt(0)
	v_subrev_co_u32_e32 v6, vcc, s16, v6
	v_subbrev_co_u32_e32 v7, vcc, 0, v7, vcc
	v_cmp_lt_i64_e32 vcc, -1, v[6:7]
	v_cmp_gt_i64_e64 s[0:1], s[10:11], v[6:7]
	s_and_b64 s[18:19], vcc, s[0:1]
	s_and_saveexec_b64 s[0:1], s[18:19]
	s_cbranch_execz .LBB8_2
; %bb.4:                                ;   in Loop: Header=BB8_3 Depth=1
	v_lshlrev_b64 v[9:10], 2, v[0:1]
	v_mov_b32_e32 v1, s15
	v_add_co_u32_e32 v9, vcc, s14, v9
	v_addc_co_u32_e32 v10, vcc, v1, v10, vcc
	global_load_dword v1, v[9:10], off
	v_add_co_u32_e32 v6, vcc, s9, v6
	s_add_u32 s2, s2, -1
	v_addc_co_u32_e32 v7, vcc, 0, v7, vcc
	s_addc_u32 s3, s3, -1
	global_store_dwordx2 v[2:3], v[6:7], off
	v_add_co_u32_e32 v2, vcc, 8, v2
	s_cmp_eq_u64 s[2:3], 0
	v_addc_co_u32_e32 v3, vcc, 0, v3, vcc
	s_cselect_b64 s[18:19], -1, 0
	s_andn2_b64 s[4:5], s[4:5], exec
	s_and_b64 s[18:19], s[18:19], exec
	v_add_u32_e32 v0, s8, v0
	s_or_b64 s[4:5], s[4:5], s[18:19]
	s_waitcnt vmcnt(1)
	global_store_dword v[4:5], v1, off
	v_add_co_u32_e32 v4, vcc, 4, v4
	v_addc_co_u32_e32 v5, vcc, 0, v5, vcc
	s_branch .LBB8_2
.LBB8_5:
	s_endpgm
	.section	.rodata,"a",@progbits
	.p2align	6, 0x0
	.amdhsa_kernel _ZN9rocsparseL12ell2csr_fillILj256EfilEEvT2_S1_S1_PKS1_PKT0_21rocsparse_index_base_PKT1_PS1_PS4_S7_
		.amdhsa_group_segment_fixed_size 0
		.amdhsa_private_segment_fixed_size 0
		.amdhsa_kernarg_size 76
		.amdhsa_user_sgpr_count 6
		.amdhsa_user_sgpr_private_segment_buffer 1
		.amdhsa_user_sgpr_dispatch_ptr 0
		.amdhsa_user_sgpr_queue_ptr 0
		.amdhsa_user_sgpr_kernarg_segment_ptr 1
		.amdhsa_user_sgpr_dispatch_id 0
		.amdhsa_user_sgpr_flat_scratch_init 0
		.amdhsa_user_sgpr_private_segment_size 0
		.amdhsa_uses_dynamic_stack 0
		.amdhsa_system_sgpr_private_segment_wavefront_offset 0
		.amdhsa_system_sgpr_workgroup_id_x 1
		.amdhsa_system_sgpr_workgroup_id_y 0
		.amdhsa_system_sgpr_workgroup_id_z 0
		.amdhsa_system_sgpr_workgroup_info 0
		.amdhsa_system_vgpr_workitem_id 0
		.amdhsa_next_free_vgpr 11
		.amdhsa_next_free_sgpr 20
		.amdhsa_reserve_vcc 1
		.amdhsa_reserve_flat_scratch 0
		.amdhsa_float_round_mode_32 0
		.amdhsa_float_round_mode_16_64 0
		.amdhsa_float_denorm_mode_32 3
		.amdhsa_float_denorm_mode_16_64 3
		.amdhsa_dx10_clamp 1
		.amdhsa_ieee_mode 1
		.amdhsa_fp16_overflow 0
		.amdhsa_exception_fp_ieee_invalid_op 0
		.amdhsa_exception_fp_denorm_src 0
		.amdhsa_exception_fp_ieee_div_zero 0
		.amdhsa_exception_fp_ieee_overflow 0
		.amdhsa_exception_fp_ieee_underflow 0
		.amdhsa_exception_fp_ieee_inexact 0
		.amdhsa_exception_int_div_zero 0
	.end_amdhsa_kernel
	.section	.text._ZN9rocsparseL12ell2csr_fillILj256EfilEEvT2_S1_S1_PKS1_PKT0_21rocsparse_index_base_PKT1_PS1_PS4_S7_,"axG",@progbits,_ZN9rocsparseL12ell2csr_fillILj256EfilEEvT2_S1_S1_PKS1_PKT0_21rocsparse_index_base_PKT1_PS1_PS4_S7_,comdat
.Lfunc_end8:
	.size	_ZN9rocsparseL12ell2csr_fillILj256EfilEEvT2_S1_S1_PKS1_PKT0_21rocsparse_index_base_PKT1_PS1_PS4_S7_, .Lfunc_end8-_ZN9rocsparseL12ell2csr_fillILj256EfilEEvT2_S1_S1_PKS1_PKT0_21rocsparse_index_base_PKT1_PS1_PS4_S7_
                                        ; -- End function
	.set _ZN9rocsparseL12ell2csr_fillILj256EfilEEvT2_S1_S1_PKS1_PKT0_21rocsparse_index_base_PKT1_PS1_PS4_S7_.num_vgpr, 11
	.set _ZN9rocsparseL12ell2csr_fillILj256EfilEEvT2_S1_S1_PKS1_PKT0_21rocsparse_index_base_PKT1_PS1_PS4_S7_.num_agpr, 0
	.set _ZN9rocsparseL12ell2csr_fillILj256EfilEEvT2_S1_S1_PKS1_PKT0_21rocsparse_index_base_PKT1_PS1_PS4_S7_.numbered_sgpr, 20
	.set _ZN9rocsparseL12ell2csr_fillILj256EfilEEvT2_S1_S1_PKS1_PKT0_21rocsparse_index_base_PKT1_PS1_PS4_S7_.num_named_barrier, 0
	.set _ZN9rocsparseL12ell2csr_fillILj256EfilEEvT2_S1_S1_PKS1_PKT0_21rocsparse_index_base_PKT1_PS1_PS4_S7_.private_seg_size, 0
	.set _ZN9rocsparseL12ell2csr_fillILj256EfilEEvT2_S1_S1_PKS1_PKT0_21rocsparse_index_base_PKT1_PS1_PS4_S7_.uses_vcc, 1
	.set _ZN9rocsparseL12ell2csr_fillILj256EfilEEvT2_S1_S1_PKS1_PKT0_21rocsparse_index_base_PKT1_PS1_PS4_S7_.uses_flat_scratch, 0
	.set _ZN9rocsparseL12ell2csr_fillILj256EfilEEvT2_S1_S1_PKS1_PKT0_21rocsparse_index_base_PKT1_PS1_PS4_S7_.has_dyn_sized_stack, 0
	.set _ZN9rocsparseL12ell2csr_fillILj256EfilEEvT2_S1_S1_PKS1_PKT0_21rocsparse_index_base_PKT1_PS1_PS4_S7_.has_recursion, 0
	.set _ZN9rocsparseL12ell2csr_fillILj256EfilEEvT2_S1_S1_PKS1_PKT0_21rocsparse_index_base_PKT1_PS1_PS4_S7_.has_indirect_call, 0
	.section	.AMDGPU.csdata,"",@progbits
; Kernel info:
; codeLenInByte = 396
; TotalNumSgprs: 24
; NumVgprs: 11
; ScratchSize: 0
; MemoryBound: 0
; FloatMode: 240
; IeeeMode: 1
; LDSByteSize: 0 bytes/workgroup (compile time only)
; SGPRBlocks: 2
; VGPRBlocks: 2
; NumSGPRsForWavesPerEU: 24
; NumVGPRsForWavesPerEU: 11
; Occupancy: 10
; WaveLimiterHint : 0
; COMPUTE_PGM_RSRC2:SCRATCH_EN: 0
; COMPUTE_PGM_RSRC2:USER_SGPR: 6
; COMPUTE_PGM_RSRC2:TRAP_HANDLER: 0
; COMPUTE_PGM_RSRC2:TGID_X_EN: 1
; COMPUTE_PGM_RSRC2:TGID_Y_EN: 0
; COMPUTE_PGM_RSRC2:TGID_Z_EN: 0
; COMPUTE_PGM_RSRC2:TIDIG_COMP_CNT: 0
	.section	.text._ZN9rocsparseL12ell2csr_fillILj256E21rocsparse_complex_numIfEilEEvT2_S3_S3_PKS3_PKT0_21rocsparse_index_base_PKT1_PS3_PS6_S9_,"axG",@progbits,_ZN9rocsparseL12ell2csr_fillILj256E21rocsparse_complex_numIfEilEEvT2_S3_S3_PKS3_PKT0_21rocsparse_index_base_PKT1_PS3_PS6_S9_,comdat
	.globl	_ZN9rocsparseL12ell2csr_fillILj256E21rocsparse_complex_numIfEilEEvT2_S3_S3_PKS3_PKT0_21rocsparse_index_base_PKT1_PS3_PS6_S9_ ; -- Begin function _ZN9rocsparseL12ell2csr_fillILj256E21rocsparse_complex_numIfEilEEvT2_S3_S3_PKS3_PKT0_21rocsparse_index_base_PKT1_PS3_PS6_S9_
	.p2align	8
	.type	_ZN9rocsparseL12ell2csr_fillILj256E21rocsparse_complex_numIfEilEEvT2_S3_S3_PKS3_PKT0_21rocsparse_index_base_PKT1_PS3_PS6_S9_,@function
_ZN9rocsparseL12ell2csr_fillILj256E21rocsparse_complex_numIfEilEEvT2_S3_S3_PKS3_PKT0_21rocsparse_index_base_PKT1_PS3_PS6_S9_: ; @_ZN9rocsparseL12ell2csr_fillILj256E21rocsparse_complex_numIfEilEEvT2_S3_S3_PKS3_PKT0_21rocsparse_index_base_PKT1_PS3_PS6_S9_
; %bb.0:
	s_load_dwordx4 s[8:11], s[4:5], 0x0
	s_load_dwordx2 s[2:3], s[4:5], 0x10
	v_lshl_or_b32 v0, s6, 8, v0
	v_mov_b32_e32 v1, 0
	s_mov_b64 s[6:7], 0
	s_waitcnt lgkmcnt(0)
	v_cmp_gt_i64_e32 vcc, s[8:9], v[0:1]
	v_cmp_gt_i64_e64 s[0:1], s[2:3], 0
	s_and_b64 s[0:1], vcc, s[0:1]
	s_and_saveexec_b64 s[12:13], s[0:1]
	s_cbranch_execz .LBB9_5
; %bb.1:
	s_load_dwordx4 s[16:19], s[4:5], 0x30
	v_lshlrev_b64 v[1:2], 2, v[0:1]
	s_waitcnt lgkmcnt(0)
	v_mov_b32_e32 v3, s17
	v_add_co_u32_e32 v1, vcc, s16, v1
	v_addc_co_u32_e32 v2, vcc, v3, v2, vcc
	global_load_dword v1, v[1:2], off
	s_load_dwordx2 s[0:1], s[4:5], 0x40
	s_load_dword s9, s[4:5], 0x48
	s_load_dwordx4 s[12:15], s[4:5], 0x18
	s_load_dword s16, s[4:5], 0x28
	v_mov_b32_e32 v3, s19
	s_waitcnt lgkmcnt(0)
	v_mov_b32_e32 v6, s1
                                        ; implicit-def: $sgpr4_sgpr5
	v_mov_b32_e32 v10, s13
	s_waitcnt vmcnt(0)
	v_subrev_u32_e32 v1, s9, v1
	v_ashrrev_i32_e32 v2, 31, v1
	v_lshlrev_b64 v[4:5], 3, v[1:2]
	v_add_co_u32_e32 v2, vcc, s18, v4
	v_addc_co_u32_e32 v3, vcc, v3, v5, vcc
	v_add_co_u32_e32 v4, vcc, s0, v4
	v_addc_co_u32_e32 v5, vcc, v6, v5, vcc
	s_branch .LBB9_3
.LBB9_2:                                ;   in Loop: Header=BB9_3 Depth=1
	s_or_b64 exec, exec, s[0:1]
	s_and_b64 s[0:1], exec, s[4:5]
	s_or_b64 s[6:7], s[0:1], s[6:7]
	s_andn2_b64 exec, exec, s[6:7]
	s_cbranch_execz .LBB9_5
.LBB9_3:                                ; =>This Inner Loop Header: Depth=1
	v_ashrrev_i32_e32 v1, 31, v0
	v_lshlrev_b64 v[6:7], 3, v[0:1]
	s_or_b64 s[4:5], s[4:5], exec
	v_add_co_u32_e32 v8, vcc, s12, v6
	v_addc_co_u32_e32 v9, vcc, v10, v7, vcc
	global_load_dwordx2 v[8:9], v[8:9], off
	s_waitcnt vmcnt(0)
	v_subrev_co_u32_e32 v8, vcc, s16, v8
	v_subbrev_co_u32_e32 v9, vcc, 0, v9, vcc
	v_cmp_lt_i64_e32 vcc, -1, v[8:9]
	v_cmp_gt_i64_e64 s[0:1], s[10:11], v[8:9]
	s_and_b64 s[18:19], vcc, s[0:1]
	s_and_saveexec_b64 s[0:1], s[18:19]
	s_cbranch_execz .LBB9_2
; %bb.4:                                ;   in Loop: Header=BB9_3 Depth=1
	v_add_co_u32_e32 v8, vcc, s9, v8
	v_addc_co_u32_e32 v9, vcc, 0, v9, vcc
	v_mov_b32_e32 v1, s15
	v_add_co_u32_e32 v6, vcc, s14, v6
	global_store_dwordx2 v[2:3], v[8:9], off
	v_addc_co_u32_e32 v7, vcc, v1, v7, vcc
	global_load_dwordx2 v[6:7], v[6:7], off
	s_add_u32 s2, s2, -1
	s_addc_u32 s3, s3, -1
	v_add_co_u32_e32 v2, vcc, 8, v2
	s_cmp_eq_u64 s[2:3], 0
	v_addc_co_u32_e32 v3, vcc, 0, v3, vcc
	s_cselect_b64 s[18:19], -1, 0
	s_andn2_b64 s[4:5], s[4:5], exec
	s_and_b64 s[18:19], s[18:19], exec
	v_add_u32_e32 v0, s8, v0
	s_or_b64 s[4:5], s[4:5], s[18:19]
	s_waitcnt vmcnt(0)
	global_store_dwordx2 v[4:5], v[6:7], off
	v_add_co_u32_e32 v4, vcc, 8, v4
	v_addc_co_u32_e32 v5, vcc, 0, v5, vcc
	s_branch .LBB9_2
.LBB9_5:
	s_endpgm
	.section	.rodata,"a",@progbits
	.p2align	6, 0x0
	.amdhsa_kernel _ZN9rocsparseL12ell2csr_fillILj256E21rocsparse_complex_numIfEilEEvT2_S3_S3_PKS3_PKT0_21rocsparse_index_base_PKT1_PS3_PS6_S9_
		.amdhsa_group_segment_fixed_size 0
		.amdhsa_private_segment_fixed_size 0
		.amdhsa_kernarg_size 76
		.amdhsa_user_sgpr_count 6
		.amdhsa_user_sgpr_private_segment_buffer 1
		.amdhsa_user_sgpr_dispatch_ptr 0
		.amdhsa_user_sgpr_queue_ptr 0
		.amdhsa_user_sgpr_kernarg_segment_ptr 1
		.amdhsa_user_sgpr_dispatch_id 0
		.amdhsa_user_sgpr_flat_scratch_init 0
		.amdhsa_user_sgpr_private_segment_size 0
		.amdhsa_uses_dynamic_stack 0
		.amdhsa_system_sgpr_private_segment_wavefront_offset 0
		.amdhsa_system_sgpr_workgroup_id_x 1
		.amdhsa_system_sgpr_workgroup_id_y 0
		.amdhsa_system_sgpr_workgroup_id_z 0
		.amdhsa_system_sgpr_workgroup_info 0
		.amdhsa_system_vgpr_workitem_id 0
		.amdhsa_next_free_vgpr 11
		.amdhsa_next_free_sgpr 20
		.amdhsa_reserve_vcc 1
		.amdhsa_reserve_flat_scratch 0
		.amdhsa_float_round_mode_32 0
		.amdhsa_float_round_mode_16_64 0
		.amdhsa_float_denorm_mode_32 3
		.amdhsa_float_denorm_mode_16_64 3
		.amdhsa_dx10_clamp 1
		.amdhsa_ieee_mode 1
		.amdhsa_fp16_overflow 0
		.amdhsa_exception_fp_ieee_invalid_op 0
		.amdhsa_exception_fp_denorm_src 0
		.amdhsa_exception_fp_ieee_div_zero 0
		.amdhsa_exception_fp_ieee_overflow 0
		.amdhsa_exception_fp_ieee_underflow 0
		.amdhsa_exception_fp_ieee_inexact 0
		.amdhsa_exception_int_div_zero 0
	.end_amdhsa_kernel
	.section	.text._ZN9rocsparseL12ell2csr_fillILj256E21rocsparse_complex_numIfEilEEvT2_S3_S3_PKS3_PKT0_21rocsparse_index_base_PKT1_PS3_PS6_S9_,"axG",@progbits,_ZN9rocsparseL12ell2csr_fillILj256E21rocsparse_complex_numIfEilEEvT2_S3_S3_PKS3_PKT0_21rocsparse_index_base_PKT1_PS3_PS6_S9_,comdat
.Lfunc_end9:
	.size	_ZN9rocsparseL12ell2csr_fillILj256E21rocsparse_complex_numIfEilEEvT2_S3_S3_PKS3_PKT0_21rocsparse_index_base_PKT1_PS3_PS6_S9_, .Lfunc_end9-_ZN9rocsparseL12ell2csr_fillILj256E21rocsparse_complex_numIfEilEEvT2_S3_S3_PKS3_PKT0_21rocsparse_index_base_PKT1_PS3_PS6_S9_
                                        ; -- End function
	.set _ZN9rocsparseL12ell2csr_fillILj256E21rocsparse_complex_numIfEilEEvT2_S3_S3_PKS3_PKT0_21rocsparse_index_base_PKT1_PS3_PS6_S9_.num_vgpr, 11
	.set _ZN9rocsparseL12ell2csr_fillILj256E21rocsparse_complex_numIfEilEEvT2_S3_S3_PKS3_PKT0_21rocsparse_index_base_PKT1_PS3_PS6_S9_.num_agpr, 0
	.set _ZN9rocsparseL12ell2csr_fillILj256E21rocsparse_complex_numIfEilEEvT2_S3_S3_PKS3_PKT0_21rocsparse_index_base_PKT1_PS3_PS6_S9_.numbered_sgpr, 20
	.set _ZN9rocsparseL12ell2csr_fillILj256E21rocsparse_complex_numIfEilEEvT2_S3_S3_PKS3_PKT0_21rocsparse_index_base_PKT1_PS3_PS6_S9_.num_named_barrier, 0
	.set _ZN9rocsparseL12ell2csr_fillILj256E21rocsparse_complex_numIfEilEEvT2_S3_S3_PKS3_PKT0_21rocsparse_index_base_PKT1_PS3_PS6_S9_.private_seg_size, 0
	.set _ZN9rocsparseL12ell2csr_fillILj256E21rocsparse_complex_numIfEilEEvT2_S3_S3_PKS3_PKT0_21rocsparse_index_base_PKT1_PS3_PS6_S9_.uses_vcc, 1
	.set _ZN9rocsparseL12ell2csr_fillILj256E21rocsparse_complex_numIfEilEEvT2_S3_S3_PKS3_PKT0_21rocsparse_index_base_PKT1_PS3_PS6_S9_.uses_flat_scratch, 0
	.set _ZN9rocsparseL12ell2csr_fillILj256E21rocsparse_complex_numIfEilEEvT2_S3_S3_PKS3_PKT0_21rocsparse_index_base_PKT1_PS3_PS6_S9_.has_dyn_sized_stack, 0
	.set _ZN9rocsparseL12ell2csr_fillILj256E21rocsparse_complex_numIfEilEEvT2_S3_S3_PKS3_PKT0_21rocsparse_index_base_PKT1_PS3_PS6_S9_.has_recursion, 0
	.set _ZN9rocsparseL12ell2csr_fillILj256E21rocsparse_complex_numIfEilEEvT2_S3_S3_PKS3_PKT0_21rocsparse_index_base_PKT1_PS3_PS6_S9_.has_indirect_call, 0
	.section	.AMDGPU.csdata,"",@progbits
; Kernel info:
; codeLenInByte = 380
; TotalNumSgprs: 24
; NumVgprs: 11
; ScratchSize: 0
; MemoryBound: 0
; FloatMode: 240
; IeeeMode: 1
; LDSByteSize: 0 bytes/workgroup (compile time only)
; SGPRBlocks: 2
; VGPRBlocks: 2
; NumSGPRsForWavesPerEU: 24
; NumVGPRsForWavesPerEU: 11
; Occupancy: 10
; WaveLimiterHint : 0
; COMPUTE_PGM_RSRC2:SCRATCH_EN: 0
; COMPUTE_PGM_RSRC2:USER_SGPR: 6
; COMPUTE_PGM_RSRC2:TRAP_HANDLER: 0
; COMPUTE_PGM_RSRC2:TGID_X_EN: 1
; COMPUTE_PGM_RSRC2:TGID_Y_EN: 0
; COMPUTE_PGM_RSRC2:TGID_Z_EN: 0
; COMPUTE_PGM_RSRC2:TIDIG_COMP_CNT: 0
	.section	.text._ZN9rocsparseL12ell2csr_fillILj256EdilEEvT2_S1_S1_PKS1_PKT0_21rocsparse_index_base_PKT1_PS1_PS4_S7_,"axG",@progbits,_ZN9rocsparseL12ell2csr_fillILj256EdilEEvT2_S1_S1_PKS1_PKT0_21rocsparse_index_base_PKT1_PS1_PS4_S7_,comdat
	.globl	_ZN9rocsparseL12ell2csr_fillILj256EdilEEvT2_S1_S1_PKS1_PKT0_21rocsparse_index_base_PKT1_PS1_PS4_S7_ ; -- Begin function _ZN9rocsparseL12ell2csr_fillILj256EdilEEvT2_S1_S1_PKS1_PKT0_21rocsparse_index_base_PKT1_PS1_PS4_S7_
	.p2align	8
	.type	_ZN9rocsparseL12ell2csr_fillILj256EdilEEvT2_S1_S1_PKS1_PKT0_21rocsparse_index_base_PKT1_PS1_PS4_S7_,@function
_ZN9rocsparseL12ell2csr_fillILj256EdilEEvT2_S1_S1_PKS1_PKT0_21rocsparse_index_base_PKT1_PS1_PS4_S7_: ; @_ZN9rocsparseL12ell2csr_fillILj256EdilEEvT2_S1_S1_PKS1_PKT0_21rocsparse_index_base_PKT1_PS1_PS4_S7_
; %bb.0:
	s_load_dwordx4 s[8:11], s[4:5], 0x0
	s_load_dwordx2 s[2:3], s[4:5], 0x10
	v_lshl_or_b32 v0, s6, 8, v0
	v_mov_b32_e32 v1, 0
	s_mov_b64 s[6:7], 0
	s_waitcnt lgkmcnt(0)
	v_cmp_gt_i64_e32 vcc, s[8:9], v[0:1]
	v_cmp_gt_i64_e64 s[0:1], s[2:3], 0
	s_and_b64 s[0:1], vcc, s[0:1]
	s_and_saveexec_b64 s[12:13], s[0:1]
	s_cbranch_execz .LBB10_5
; %bb.1:
	s_load_dwordx4 s[16:19], s[4:5], 0x30
	v_lshlrev_b64 v[1:2], 2, v[0:1]
	s_waitcnt lgkmcnt(0)
	v_mov_b32_e32 v3, s17
	v_add_co_u32_e32 v1, vcc, s16, v1
	v_addc_co_u32_e32 v2, vcc, v3, v2, vcc
	global_load_dword v1, v[1:2], off
	s_load_dwordx2 s[0:1], s[4:5], 0x40
	s_load_dword s9, s[4:5], 0x48
	s_load_dwordx4 s[12:15], s[4:5], 0x18
	s_load_dword s16, s[4:5], 0x28
	v_mov_b32_e32 v3, s19
	s_waitcnt lgkmcnt(0)
	v_mov_b32_e32 v6, s1
                                        ; implicit-def: $sgpr4_sgpr5
	v_mov_b32_e32 v10, s13
	s_waitcnt vmcnt(0)
	v_subrev_u32_e32 v1, s9, v1
	v_ashrrev_i32_e32 v2, 31, v1
	v_lshlrev_b64 v[4:5], 3, v[1:2]
	v_add_co_u32_e32 v2, vcc, s18, v4
	v_addc_co_u32_e32 v3, vcc, v3, v5, vcc
	v_add_co_u32_e32 v4, vcc, s0, v4
	v_addc_co_u32_e32 v5, vcc, v6, v5, vcc
	s_branch .LBB10_3
.LBB10_2:                               ;   in Loop: Header=BB10_3 Depth=1
	s_or_b64 exec, exec, s[0:1]
	s_and_b64 s[0:1], exec, s[4:5]
	s_or_b64 s[6:7], s[0:1], s[6:7]
	s_andn2_b64 exec, exec, s[6:7]
	s_cbranch_execz .LBB10_5
.LBB10_3:                               ; =>This Inner Loop Header: Depth=1
	v_ashrrev_i32_e32 v1, 31, v0
	v_lshlrev_b64 v[6:7], 3, v[0:1]
	s_or_b64 s[4:5], s[4:5], exec
	v_add_co_u32_e32 v8, vcc, s12, v6
	v_addc_co_u32_e32 v9, vcc, v10, v7, vcc
	global_load_dwordx2 v[8:9], v[8:9], off
	s_waitcnt vmcnt(0)
	v_subrev_co_u32_e32 v8, vcc, s16, v8
	v_subbrev_co_u32_e32 v9, vcc, 0, v9, vcc
	v_cmp_lt_i64_e32 vcc, -1, v[8:9]
	v_cmp_gt_i64_e64 s[0:1], s[10:11], v[8:9]
	s_and_b64 s[18:19], vcc, s[0:1]
	s_and_saveexec_b64 s[0:1], s[18:19]
	s_cbranch_execz .LBB10_2
; %bb.4:                                ;   in Loop: Header=BB10_3 Depth=1
	v_mov_b32_e32 v1, s15
	v_add_co_u32_e32 v6, vcc, s14, v6
	v_addc_co_u32_e32 v7, vcc, v1, v7, vcc
	global_load_dwordx2 v[6:7], v[6:7], off
	v_add_co_u32_e32 v8, vcc, s9, v8
	s_add_u32 s2, s2, -1
	v_addc_co_u32_e32 v9, vcc, 0, v9, vcc
	s_addc_u32 s3, s3, -1
	global_store_dwordx2 v[2:3], v[8:9], off
	v_add_co_u32_e32 v2, vcc, 8, v2
	s_cmp_eq_u64 s[2:3], 0
	v_addc_co_u32_e32 v3, vcc, 0, v3, vcc
	s_cselect_b64 s[18:19], -1, 0
	s_andn2_b64 s[4:5], s[4:5], exec
	s_and_b64 s[18:19], s[18:19], exec
	v_add_u32_e32 v0, s8, v0
	s_or_b64 s[4:5], s[4:5], s[18:19]
	s_waitcnt vmcnt(1)
	global_store_dwordx2 v[4:5], v[6:7], off
	v_add_co_u32_e32 v4, vcc, 8, v4
	v_addc_co_u32_e32 v5, vcc, 0, v5, vcc
	s_branch .LBB10_2
.LBB10_5:
	s_endpgm
	.section	.rodata,"a",@progbits
	.p2align	6, 0x0
	.amdhsa_kernel _ZN9rocsparseL12ell2csr_fillILj256EdilEEvT2_S1_S1_PKS1_PKT0_21rocsparse_index_base_PKT1_PS1_PS4_S7_
		.amdhsa_group_segment_fixed_size 0
		.amdhsa_private_segment_fixed_size 0
		.amdhsa_kernarg_size 76
		.amdhsa_user_sgpr_count 6
		.amdhsa_user_sgpr_private_segment_buffer 1
		.amdhsa_user_sgpr_dispatch_ptr 0
		.amdhsa_user_sgpr_queue_ptr 0
		.amdhsa_user_sgpr_kernarg_segment_ptr 1
		.amdhsa_user_sgpr_dispatch_id 0
		.amdhsa_user_sgpr_flat_scratch_init 0
		.amdhsa_user_sgpr_private_segment_size 0
		.amdhsa_uses_dynamic_stack 0
		.amdhsa_system_sgpr_private_segment_wavefront_offset 0
		.amdhsa_system_sgpr_workgroup_id_x 1
		.amdhsa_system_sgpr_workgroup_id_y 0
		.amdhsa_system_sgpr_workgroup_id_z 0
		.amdhsa_system_sgpr_workgroup_info 0
		.amdhsa_system_vgpr_workitem_id 0
		.amdhsa_next_free_vgpr 11
		.amdhsa_next_free_sgpr 20
		.amdhsa_reserve_vcc 1
		.amdhsa_reserve_flat_scratch 0
		.amdhsa_float_round_mode_32 0
		.amdhsa_float_round_mode_16_64 0
		.amdhsa_float_denorm_mode_32 3
		.amdhsa_float_denorm_mode_16_64 3
		.amdhsa_dx10_clamp 1
		.amdhsa_ieee_mode 1
		.amdhsa_fp16_overflow 0
		.amdhsa_exception_fp_ieee_invalid_op 0
		.amdhsa_exception_fp_denorm_src 0
		.amdhsa_exception_fp_ieee_div_zero 0
		.amdhsa_exception_fp_ieee_overflow 0
		.amdhsa_exception_fp_ieee_underflow 0
		.amdhsa_exception_fp_ieee_inexact 0
		.amdhsa_exception_int_div_zero 0
	.end_amdhsa_kernel
	.section	.text._ZN9rocsparseL12ell2csr_fillILj256EdilEEvT2_S1_S1_PKS1_PKT0_21rocsparse_index_base_PKT1_PS1_PS4_S7_,"axG",@progbits,_ZN9rocsparseL12ell2csr_fillILj256EdilEEvT2_S1_S1_PKS1_PKT0_21rocsparse_index_base_PKT1_PS1_PS4_S7_,comdat
.Lfunc_end10:
	.size	_ZN9rocsparseL12ell2csr_fillILj256EdilEEvT2_S1_S1_PKS1_PKT0_21rocsparse_index_base_PKT1_PS1_PS4_S7_, .Lfunc_end10-_ZN9rocsparseL12ell2csr_fillILj256EdilEEvT2_S1_S1_PKS1_PKT0_21rocsparse_index_base_PKT1_PS1_PS4_S7_
                                        ; -- End function
	.set _ZN9rocsparseL12ell2csr_fillILj256EdilEEvT2_S1_S1_PKS1_PKT0_21rocsparse_index_base_PKT1_PS1_PS4_S7_.num_vgpr, 11
	.set _ZN9rocsparseL12ell2csr_fillILj256EdilEEvT2_S1_S1_PKS1_PKT0_21rocsparse_index_base_PKT1_PS1_PS4_S7_.num_agpr, 0
	.set _ZN9rocsparseL12ell2csr_fillILj256EdilEEvT2_S1_S1_PKS1_PKT0_21rocsparse_index_base_PKT1_PS1_PS4_S7_.numbered_sgpr, 20
	.set _ZN9rocsparseL12ell2csr_fillILj256EdilEEvT2_S1_S1_PKS1_PKT0_21rocsparse_index_base_PKT1_PS1_PS4_S7_.num_named_barrier, 0
	.set _ZN9rocsparseL12ell2csr_fillILj256EdilEEvT2_S1_S1_PKS1_PKT0_21rocsparse_index_base_PKT1_PS1_PS4_S7_.private_seg_size, 0
	.set _ZN9rocsparseL12ell2csr_fillILj256EdilEEvT2_S1_S1_PKS1_PKT0_21rocsparse_index_base_PKT1_PS1_PS4_S7_.uses_vcc, 1
	.set _ZN9rocsparseL12ell2csr_fillILj256EdilEEvT2_S1_S1_PKS1_PKT0_21rocsparse_index_base_PKT1_PS1_PS4_S7_.uses_flat_scratch, 0
	.set _ZN9rocsparseL12ell2csr_fillILj256EdilEEvT2_S1_S1_PKS1_PKT0_21rocsparse_index_base_PKT1_PS1_PS4_S7_.has_dyn_sized_stack, 0
	.set _ZN9rocsparseL12ell2csr_fillILj256EdilEEvT2_S1_S1_PKS1_PKT0_21rocsparse_index_base_PKT1_PS1_PS4_S7_.has_recursion, 0
	.set _ZN9rocsparseL12ell2csr_fillILj256EdilEEvT2_S1_S1_PKS1_PKT0_21rocsparse_index_base_PKT1_PS1_PS4_S7_.has_indirect_call, 0
	.section	.AMDGPU.csdata,"",@progbits
; Kernel info:
; codeLenInByte = 380
; TotalNumSgprs: 24
; NumVgprs: 11
; ScratchSize: 0
; MemoryBound: 0
; FloatMode: 240
; IeeeMode: 1
; LDSByteSize: 0 bytes/workgroup (compile time only)
; SGPRBlocks: 2
; VGPRBlocks: 2
; NumSGPRsForWavesPerEU: 24
; NumVGPRsForWavesPerEU: 11
; Occupancy: 10
; WaveLimiterHint : 0
; COMPUTE_PGM_RSRC2:SCRATCH_EN: 0
; COMPUTE_PGM_RSRC2:USER_SGPR: 6
; COMPUTE_PGM_RSRC2:TRAP_HANDLER: 0
; COMPUTE_PGM_RSRC2:TGID_X_EN: 1
; COMPUTE_PGM_RSRC2:TGID_Y_EN: 0
; COMPUTE_PGM_RSRC2:TGID_Z_EN: 0
; COMPUTE_PGM_RSRC2:TIDIG_COMP_CNT: 0
	.section	.text._ZN9rocsparseL12ell2csr_fillILj256E21rocsparse_complex_numIdEilEEvT2_S3_S3_PKS3_PKT0_21rocsparse_index_base_PKT1_PS3_PS6_S9_,"axG",@progbits,_ZN9rocsparseL12ell2csr_fillILj256E21rocsparse_complex_numIdEilEEvT2_S3_S3_PKS3_PKT0_21rocsparse_index_base_PKT1_PS3_PS6_S9_,comdat
	.globl	_ZN9rocsparseL12ell2csr_fillILj256E21rocsparse_complex_numIdEilEEvT2_S3_S3_PKS3_PKT0_21rocsparse_index_base_PKT1_PS3_PS6_S9_ ; -- Begin function _ZN9rocsparseL12ell2csr_fillILj256E21rocsparse_complex_numIdEilEEvT2_S3_S3_PKS3_PKT0_21rocsparse_index_base_PKT1_PS3_PS6_S9_
	.p2align	8
	.type	_ZN9rocsparseL12ell2csr_fillILj256E21rocsparse_complex_numIdEilEEvT2_S3_S3_PKS3_PKT0_21rocsparse_index_base_PKT1_PS3_PS6_S9_,@function
_ZN9rocsparseL12ell2csr_fillILj256E21rocsparse_complex_numIdEilEEvT2_S3_S3_PKS3_PKT0_21rocsparse_index_base_PKT1_PS3_PS6_S9_: ; @_ZN9rocsparseL12ell2csr_fillILj256E21rocsparse_complex_numIdEilEEvT2_S3_S3_PKS3_PKT0_21rocsparse_index_base_PKT1_PS3_PS6_S9_
; %bb.0:
	s_load_dwordx4 s[8:11], s[4:5], 0x0
	s_load_dwordx2 s[2:3], s[4:5], 0x10
	v_lshl_or_b32 v0, s6, 8, v0
	v_mov_b32_e32 v1, 0
	s_mov_b64 s[6:7], 0
	s_waitcnt lgkmcnt(0)
	v_cmp_gt_i64_e32 vcc, s[8:9], v[0:1]
	v_cmp_gt_i64_e64 s[0:1], s[2:3], 0
	s_and_b64 s[0:1], vcc, s[0:1]
	s_and_saveexec_b64 s[12:13], s[0:1]
	s_cbranch_execz .LBB11_5
; %bb.1:
	s_load_dwordx4 s[16:19], s[4:5], 0x30
	v_lshlrev_b64 v[1:2], 2, v[0:1]
	s_waitcnt lgkmcnt(0)
	v_mov_b32_e32 v3, s17
	v_add_co_u32_e32 v1, vcc, s16, v1
	v_addc_co_u32_e32 v2, vcc, v3, v2, vcc
	global_load_dword v1, v[1:2], off
	s_load_dwordx2 s[0:1], s[4:5], 0x40
	s_load_dword s9, s[4:5], 0x48
	s_load_dwordx4 s[12:15], s[4:5], 0x18
	s_load_dword s16, s[4:5], 0x28
	v_mov_b32_e32 v7, s19
	s_waitcnt lgkmcnt(0)
	v_mov_b32_e32 v8, s1
                                        ; implicit-def: $sgpr4_sgpr5
	s_waitcnt vmcnt(0)
	v_subrev_u32_e32 v1, s9, v1
	v_ashrrev_i32_e32 v2, 31, v1
	v_lshlrev_b64 v[3:4], 3, v[1:2]
	v_lshlrev_b64 v[5:6], 4, v[1:2]
	v_add_co_u32_e32 v2, vcc, s18, v3
	v_addc_co_u32_e32 v3, vcc, v7, v4, vcc
	v_add_co_u32_e32 v4, vcc, s0, v5
	v_addc_co_u32_e32 v5, vcc, v8, v6, vcc
	v_mov_b32_e32 v8, s13
	s_branch .LBB11_3
.LBB11_2:                               ;   in Loop: Header=BB11_3 Depth=1
	s_or_b64 exec, exec, s[0:1]
	s_and_b64 s[0:1], exec, s[4:5]
	s_or_b64 s[6:7], s[0:1], s[6:7]
	s_andn2_b64 exec, exec, s[6:7]
	s_cbranch_execz .LBB11_5
.LBB11_3:                               ; =>This Inner Loop Header: Depth=1
	v_ashrrev_i32_e32 v1, 31, v0
	v_lshlrev_b64 v[6:7], 3, v[0:1]
	s_or_b64 s[4:5], s[4:5], exec
	v_add_co_u32_e32 v6, vcc, s12, v6
	v_addc_co_u32_e32 v7, vcc, v8, v7, vcc
	global_load_dwordx2 v[6:7], v[6:7], off
	s_waitcnt vmcnt(0)
	v_subrev_co_u32_e32 v6, vcc, s16, v6
	v_subbrev_co_u32_e32 v7, vcc, 0, v7, vcc
	v_cmp_lt_i64_e32 vcc, -1, v[6:7]
	v_cmp_gt_i64_e64 s[0:1], s[10:11], v[6:7]
	s_and_b64 s[18:19], vcc, s[0:1]
	s_and_saveexec_b64 s[0:1], s[18:19]
	s_cbranch_execz .LBB11_2
; %bb.4:                                ;   in Loop: Header=BB11_3 Depth=1
	v_add_co_u32_e32 v6, vcc, s9, v6
	v_addc_co_u32_e32 v7, vcc, 0, v7, vcc
	global_store_dwordx2 v[2:3], v[6:7], off
	v_lshlrev_b64 v[6:7], 4, v[0:1]
	v_mov_b32_e32 v1, s15
	v_add_co_u32_e32 v6, vcc, s14, v6
	v_addc_co_u32_e32 v7, vcc, v1, v7, vcc
	global_load_dwordx4 v[9:12], v[6:7], off
	s_add_u32 s2, s2, -1
	s_addc_u32 s3, s3, -1
	v_add_co_u32_e32 v2, vcc, 8, v2
	s_cmp_eq_u64 s[2:3], 0
	v_addc_co_u32_e32 v3, vcc, 0, v3, vcc
	s_cselect_b64 s[18:19], -1, 0
	s_andn2_b64 s[4:5], s[4:5], exec
	s_and_b64 s[18:19], s[18:19], exec
	v_add_u32_e32 v0, s8, v0
	s_or_b64 s[4:5], s[4:5], s[18:19]
	s_waitcnt vmcnt(0)
	global_store_dwordx4 v[4:5], v[9:12], off
	v_add_co_u32_e32 v4, vcc, 16, v4
	v_addc_co_u32_e32 v5, vcc, 0, v5, vcc
	s_branch .LBB11_2
.LBB11_5:
	s_endpgm
	.section	.rodata,"a",@progbits
	.p2align	6, 0x0
	.amdhsa_kernel _ZN9rocsparseL12ell2csr_fillILj256E21rocsparse_complex_numIdEilEEvT2_S3_S3_PKS3_PKT0_21rocsparse_index_base_PKT1_PS3_PS6_S9_
		.amdhsa_group_segment_fixed_size 0
		.amdhsa_private_segment_fixed_size 0
		.amdhsa_kernarg_size 76
		.amdhsa_user_sgpr_count 6
		.amdhsa_user_sgpr_private_segment_buffer 1
		.amdhsa_user_sgpr_dispatch_ptr 0
		.amdhsa_user_sgpr_queue_ptr 0
		.amdhsa_user_sgpr_kernarg_segment_ptr 1
		.amdhsa_user_sgpr_dispatch_id 0
		.amdhsa_user_sgpr_flat_scratch_init 0
		.amdhsa_user_sgpr_private_segment_size 0
		.amdhsa_uses_dynamic_stack 0
		.amdhsa_system_sgpr_private_segment_wavefront_offset 0
		.amdhsa_system_sgpr_workgroup_id_x 1
		.amdhsa_system_sgpr_workgroup_id_y 0
		.amdhsa_system_sgpr_workgroup_id_z 0
		.amdhsa_system_sgpr_workgroup_info 0
		.amdhsa_system_vgpr_workitem_id 0
		.amdhsa_next_free_vgpr 13
		.amdhsa_next_free_sgpr 20
		.amdhsa_reserve_vcc 1
		.amdhsa_reserve_flat_scratch 0
		.amdhsa_float_round_mode_32 0
		.amdhsa_float_round_mode_16_64 0
		.amdhsa_float_denorm_mode_32 3
		.amdhsa_float_denorm_mode_16_64 3
		.amdhsa_dx10_clamp 1
		.amdhsa_ieee_mode 1
		.amdhsa_fp16_overflow 0
		.amdhsa_exception_fp_ieee_invalid_op 0
		.amdhsa_exception_fp_denorm_src 0
		.amdhsa_exception_fp_ieee_div_zero 0
		.amdhsa_exception_fp_ieee_overflow 0
		.amdhsa_exception_fp_ieee_underflow 0
		.amdhsa_exception_fp_ieee_inexact 0
		.amdhsa_exception_int_div_zero 0
	.end_amdhsa_kernel
	.section	.text._ZN9rocsparseL12ell2csr_fillILj256E21rocsparse_complex_numIdEilEEvT2_S3_S3_PKS3_PKT0_21rocsparse_index_base_PKT1_PS3_PS6_S9_,"axG",@progbits,_ZN9rocsparseL12ell2csr_fillILj256E21rocsparse_complex_numIdEilEEvT2_S3_S3_PKS3_PKT0_21rocsparse_index_base_PKT1_PS3_PS6_S9_,comdat
.Lfunc_end11:
	.size	_ZN9rocsparseL12ell2csr_fillILj256E21rocsparse_complex_numIdEilEEvT2_S3_S3_PKS3_PKT0_21rocsparse_index_base_PKT1_PS3_PS6_S9_, .Lfunc_end11-_ZN9rocsparseL12ell2csr_fillILj256E21rocsparse_complex_numIdEilEEvT2_S3_S3_PKS3_PKT0_21rocsparse_index_base_PKT1_PS3_PS6_S9_
                                        ; -- End function
	.set _ZN9rocsparseL12ell2csr_fillILj256E21rocsparse_complex_numIdEilEEvT2_S3_S3_PKS3_PKT0_21rocsparse_index_base_PKT1_PS3_PS6_S9_.num_vgpr, 13
	.set _ZN9rocsparseL12ell2csr_fillILj256E21rocsparse_complex_numIdEilEEvT2_S3_S3_PKS3_PKT0_21rocsparse_index_base_PKT1_PS3_PS6_S9_.num_agpr, 0
	.set _ZN9rocsparseL12ell2csr_fillILj256E21rocsparse_complex_numIdEilEEvT2_S3_S3_PKS3_PKT0_21rocsparse_index_base_PKT1_PS3_PS6_S9_.numbered_sgpr, 20
	.set _ZN9rocsparseL12ell2csr_fillILj256E21rocsparse_complex_numIdEilEEvT2_S3_S3_PKS3_PKT0_21rocsparse_index_base_PKT1_PS3_PS6_S9_.num_named_barrier, 0
	.set _ZN9rocsparseL12ell2csr_fillILj256E21rocsparse_complex_numIdEilEEvT2_S3_S3_PKS3_PKT0_21rocsparse_index_base_PKT1_PS3_PS6_S9_.private_seg_size, 0
	.set _ZN9rocsparseL12ell2csr_fillILj256E21rocsparse_complex_numIdEilEEvT2_S3_S3_PKS3_PKT0_21rocsparse_index_base_PKT1_PS3_PS6_S9_.uses_vcc, 1
	.set _ZN9rocsparseL12ell2csr_fillILj256E21rocsparse_complex_numIdEilEEvT2_S3_S3_PKS3_PKT0_21rocsparse_index_base_PKT1_PS3_PS6_S9_.uses_flat_scratch, 0
	.set _ZN9rocsparseL12ell2csr_fillILj256E21rocsparse_complex_numIdEilEEvT2_S3_S3_PKS3_PKT0_21rocsparse_index_base_PKT1_PS3_PS6_S9_.has_dyn_sized_stack, 0
	.set _ZN9rocsparseL12ell2csr_fillILj256E21rocsparse_complex_numIdEilEEvT2_S3_S3_PKS3_PKT0_21rocsparse_index_base_PKT1_PS3_PS6_S9_.has_recursion, 0
	.set _ZN9rocsparseL12ell2csr_fillILj256E21rocsparse_complex_numIdEilEEvT2_S3_S3_PKS3_PKT0_21rocsparse_index_base_PKT1_PS3_PS6_S9_.has_indirect_call, 0
	.section	.AMDGPU.csdata,"",@progbits
; Kernel info:
; codeLenInByte = 396
; TotalNumSgprs: 24
; NumVgprs: 13
; ScratchSize: 0
; MemoryBound: 0
; FloatMode: 240
; IeeeMode: 1
; LDSByteSize: 0 bytes/workgroup (compile time only)
; SGPRBlocks: 2
; VGPRBlocks: 3
; NumSGPRsForWavesPerEU: 24
; NumVGPRsForWavesPerEU: 13
; Occupancy: 10
; WaveLimiterHint : 0
; COMPUTE_PGM_RSRC2:SCRATCH_EN: 0
; COMPUTE_PGM_RSRC2:USER_SGPR: 6
; COMPUTE_PGM_RSRC2:TRAP_HANDLER: 0
; COMPUTE_PGM_RSRC2:TGID_X_EN: 1
; COMPUTE_PGM_RSRC2:TGID_Y_EN: 0
; COMPUTE_PGM_RSRC2:TGID_Z_EN: 0
; COMPUTE_PGM_RSRC2:TIDIG_COMP_CNT: 0
	.section	.text._ZN9rocsparseL12ell2csr_fillILj256EfllEEvT2_S1_S1_PKS1_PKT0_21rocsparse_index_base_PKT1_PS1_PS4_S7_,"axG",@progbits,_ZN9rocsparseL12ell2csr_fillILj256EfllEEvT2_S1_S1_PKS1_PKT0_21rocsparse_index_base_PKT1_PS1_PS4_S7_,comdat
	.globl	_ZN9rocsparseL12ell2csr_fillILj256EfllEEvT2_S1_S1_PKS1_PKT0_21rocsparse_index_base_PKT1_PS1_PS4_S7_ ; -- Begin function _ZN9rocsparseL12ell2csr_fillILj256EfllEEvT2_S1_S1_PKS1_PKT0_21rocsparse_index_base_PKT1_PS1_PS4_S7_
	.p2align	8
	.type	_ZN9rocsparseL12ell2csr_fillILj256EfllEEvT2_S1_S1_PKS1_PKT0_21rocsparse_index_base_PKT1_PS1_PS4_S7_,@function
_ZN9rocsparseL12ell2csr_fillILj256EfllEEvT2_S1_S1_PKS1_PKT0_21rocsparse_index_base_PKT1_PS1_PS4_S7_: ; @_ZN9rocsparseL12ell2csr_fillILj256EfllEEvT2_S1_S1_PKS1_PKT0_21rocsparse_index_base_PKT1_PS1_PS4_S7_
; %bb.0:
	s_load_dwordx4 s[0:3], s[4:5], 0x0
	v_lshl_or_b32 v0, s6, 8, v0
	v_mov_b32_e32 v1, 0
	s_waitcnt lgkmcnt(0)
	v_cmp_gt_i64_e32 vcc, s[0:1], v[0:1]
	s_and_saveexec_b64 s[6:7], vcc
	s_cbranch_execz .LBB12_6
; %bb.1:
	s_load_dwordx2 s[6:7], s[4:5], 0x10
	s_waitcnt lgkmcnt(0)
	v_cmp_lt_i64_e64 s[8:9], s[6:7], 1
	s_and_b64 vcc, exec, s[8:9]
	s_cbranch_vccnz .LBB12_6
; %bb.2:
	s_load_dwordx4 s[8:11], s[4:5], 0x30
	v_lshlrev_b64 v[2:3], 3, v[0:1]
	v_lshlrev_b64 v[6:7], 2, v[0:1]
	s_lshl_b64 s[16:17], s[0:1], 2
	s_waitcnt lgkmcnt(0)
	v_mov_b32_e32 v5, s9
	v_add_co_u32_e32 v4, vcc, s8, v2
	v_addc_co_u32_e32 v5, vcc, v5, v3, vcc
	global_load_dwordx2 v[4:5], v[4:5], off
	s_load_dwordx2 s[20:21], s[4:5], 0x40
	s_load_dwordx4 s[12:15], s[4:5], 0x18
	s_load_dword s18, s[4:5], 0x28
	s_load_dword s8, s[4:5], 0x48
	s_mov_b32 s9, 0
	s_lshl_b64 s[4:5], s[0:1], 3
	s_waitcnt lgkmcnt(0)
	v_mov_b32_e32 v1, s13
	v_add_co_u32_e32 v0, vcc, s12, v2
	v_addc_co_u32_e32 v1, vcc, v1, v3, vcc
	v_mov_b32_e32 v10, s15
	v_add_co_u32_e32 v2, vcc, s14, v6
	v_addc_co_u32_e32 v3, vcc, v10, v7, vcc
	s_lshl_b64 s[0:1], s[8:9], 2
	v_mov_b32_e32 v11, s1
	s_lshl_b64 s[22:23], s[8:9], 3
	v_mov_b32_e32 v12, s23
	v_mov_b32_e32 v8, s21
	;; [unrolled: 1-line block ×3, first 2 shown]
                                        ; implicit-def: $sgpr12_sgpr13
	s_waitcnt vmcnt(0)
	v_lshlrev_b64 v[6:7], 2, v[4:5]
	v_lshlrev_b64 v[4:5], 3, v[4:5]
	v_subrev_co_u32_e32 v6, vcc, s0, v6
	v_subb_co_u32_e32 v7, vcc, v7, v11, vcc
	v_subrev_co_u32_e32 v10, vcc, s22, v4
	v_subb_co_u32_e32 v11, vcc, v5, v12, vcc
	v_add_co_u32_e32 v4, vcc, s20, v6
	v_addc_co_u32_e32 v5, vcc, v8, v7, vcc
	v_add_co_u32_e32 v6, vcc, s10, v10
	v_addc_co_u32_e32 v7, vcc, v9, v11, vcc
	s_mov_b64 s[10:11], 0
	s_branch .LBB12_4
.LBB12_3:                               ;   in Loop: Header=BB12_4 Depth=1
	s_or_b64 exec, exec, s[0:1]
	s_and_b64 s[0:1], exec, s[12:13]
	s_or_b64 s[10:11], s[0:1], s[10:11]
	s_andn2_b64 exec, exec, s[10:11]
	s_cbranch_execz .LBB12_6
.LBB12_4:                               ; =>This Inner Loop Header: Depth=1
	global_load_dwordx2 v[8:9], v[0:1], off
	s_or_b64 s[12:13], s[12:13], exec
	s_waitcnt vmcnt(0)
	v_subrev_co_u32_e32 v8, vcc, s18, v8
	v_subbrev_co_u32_e32 v9, vcc, 0, v9, vcc
	v_cmp_lt_i64_e32 vcc, -1, v[8:9]
	v_cmp_gt_i64_e64 s[0:1], s[2:3], v[8:9]
	s_and_b64 s[14:15], vcc, s[0:1]
	s_and_saveexec_b64 s[0:1], s[14:15]
	s_cbranch_execz .LBB12_3
; %bb.5:                                ;   in Loop: Header=BB12_4 Depth=1
	global_load_dword v10, v[2:3], off
	v_add_co_u32_e32 v8, vcc, s8, v8
	v_addc_co_u32_e32 v9, vcc, 0, v9, vcc
	global_store_dwordx2 v[6:7], v[8:9], off
	v_add_co_u32_e32 v6, vcc, 8, v6
	v_addc_co_u32_e32 v7, vcc, 0, v7, vcc
	s_add_u32 s6, s6, -1
	v_mov_b32_e32 v11, s5
	v_add_co_u32_e32 v0, vcc, s4, v0
	s_addc_u32 s7, s7, -1
	v_addc_co_u32_e32 v1, vcc, v1, v11, vcc
	v_mov_b32_e32 v12, s17
	v_add_co_u32_e32 v2, vcc, s16, v2
	s_cmp_eq_u64 s[6:7], 0
	v_addc_co_u32_e32 v3, vcc, v3, v12, vcc
	s_cselect_b64 s[14:15], -1, 0
	s_andn2_b64 s[12:13], s[12:13], exec
	s_and_b64 s[14:15], s[14:15], exec
	s_or_b64 s[12:13], s[12:13], s[14:15]
	s_waitcnt vmcnt(1)
	global_store_dword v[4:5], v10, off
	v_add_co_u32_e32 v4, vcc, 4, v4
	v_addc_co_u32_e32 v5, vcc, 0, v5, vcc
	s_branch .LBB12_3
.LBB12_6:
	s_endpgm
	.section	.rodata,"a",@progbits
	.p2align	6, 0x0
	.amdhsa_kernel _ZN9rocsparseL12ell2csr_fillILj256EfllEEvT2_S1_S1_PKS1_PKT0_21rocsparse_index_base_PKT1_PS1_PS4_S7_
		.amdhsa_group_segment_fixed_size 0
		.amdhsa_private_segment_fixed_size 0
		.amdhsa_kernarg_size 76
		.amdhsa_user_sgpr_count 6
		.amdhsa_user_sgpr_private_segment_buffer 1
		.amdhsa_user_sgpr_dispatch_ptr 0
		.amdhsa_user_sgpr_queue_ptr 0
		.amdhsa_user_sgpr_kernarg_segment_ptr 1
		.amdhsa_user_sgpr_dispatch_id 0
		.amdhsa_user_sgpr_flat_scratch_init 0
		.amdhsa_user_sgpr_private_segment_size 0
		.amdhsa_uses_dynamic_stack 0
		.amdhsa_system_sgpr_private_segment_wavefront_offset 0
		.amdhsa_system_sgpr_workgroup_id_x 1
		.amdhsa_system_sgpr_workgroup_id_y 0
		.amdhsa_system_sgpr_workgroup_id_z 0
		.amdhsa_system_sgpr_workgroup_info 0
		.amdhsa_system_vgpr_workitem_id 0
		.amdhsa_next_free_vgpr 13
		.amdhsa_next_free_sgpr 24
		.amdhsa_reserve_vcc 1
		.amdhsa_reserve_flat_scratch 0
		.amdhsa_float_round_mode_32 0
		.amdhsa_float_round_mode_16_64 0
		.amdhsa_float_denorm_mode_32 3
		.amdhsa_float_denorm_mode_16_64 3
		.amdhsa_dx10_clamp 1
		.amdhsa_ieee_mode 1
		.amdhsa_fp16_overflow 0
		.amdhsa_exception_fp_ieee_invalid_op 0
		.amdhsa_exception_fp_denorm_src 0
		.amdhsa_exception_fp_ieee_div_zero 0
		.amdhsa_exception_fp_ieee_overflow 0
		.amdhsa_exception_fp_ieee_underflow 0
		.amdhsa_exception_fp_ieee_inexact 0
		.amdhsa_exception_int_div_zero 0
	.end_amdhsa_kernel
	.section	.text._ZN9rocsparseL12ell2csr_fillILj256EfllEEvT2_S1_S1_PKS1_PKT0_21rocsparse_index_base_PKT1_PS1_PS4_S7_,"axG",@progbits,_ZN9rocsparseL12ell2csr_fillILj256EfllEEvT2_S1_S1_PKS1_PKT0_21rocsparse_index_base_PKT1_PS1_PS4_S7_,comdat
.Lfunc_end12:
	.size	_ZN9rocsparseL12ell2csr_fillILj256EfllEEvT2_S1_S1_PKS1_PKT0_21rocsparse_index_base_PKT1_PS1_PS4_S7_, .Lfunc_end12-_ZN9rocsparseL12ell2csr_fillILj256EfllEEvT2_S1_S1_PKS1_PKT0_21rocsparse_index_base_PKT1_PS1_PS4_S7_
                                        ; -- End function
	.set _ZN9rocsparseL12ell2csr_fillILj256EfllEEvT2_S1_S1_PKS1_PKT0_21rocsparse_index_base_PKT1_PS1_PS4_S7_.num_vgpr, 13
	.set _ZN9rocsparseL12ell2csr_fillILj256EfllEEvT2_S1_S1_PKS1_PKT0_21rocsparse_index_base_PKT1_PS1_PS4_S7_.num_agpr, 0
	.set _ZN9rocsparseL12ell2csr_fillILj256EfllEEvT2_S1_S1_PKS1_PKT0_21rocsparse_index_base_PKT1_PS1_PS4_S7_.numbered_sgpr, 24
	.set _ZN9rocsparseL12ell2csr_fillILj256EfllEEvT2_S1_S1_PKS1_PKT0_21rocsparse_index_base_PKT1_PS1_PS4_S7_.num_named_barrier, 0
	.set _ZN9rocsparseL12ell2csr_fillILj256EfllEEvT2_S1_S1_PKS1_PKT0_21rocsparse_index_base_PKT1_PS1_PS4_S7_.private_seg_size, 0
	.set _ZN9rocsparseL12ell2csr_fillILj256EfllEEvT2_S1_S1_PKS1_PKT0_21rocsparse_index_base_PKT1_PS1_PS4_S7_.uses_vcc, 1
	.set _ZN9rocsparseL12ell2csr_fillILj256EfllEEvT2_S1_S1_PKS1_PKT0_21rocsparse_index_base_PKT1_PS1_PS4_S7_.uses_flat_scratch, 0
	.set _ZN9rocsparseL12ell2csr_fillILj256EfllEEvT2_S1_S1_PKS1_PKT0_21rocsparse_index_base_PKT1_PS1_PS4_S7_.has_dyn_sized_stack, 0
	.set _ZN9rocsparseL12ell2csr_fillILj256EfllEEvT2_S1_S1_PKS1_PKT0_21rocsparse_index_base_PKT1_PS1_PS4_S7_.has_recursion, 0
	.set _ZN9rocsparseL12ell2csr_fillILj256EfllEEvT2_S1_S1_PKS1_PKT0_21rocsparse_index_base_PKT1_PS1_PS4_S7_.has_indirect_call, 0
	.section	.AMDGPU.csdata,"",@progbits
; Kernel info:
; codeLenInByte = 448
; TotalNumSgprs: 28
; NumVgprs: 13
; ScratchSize: 0
; MemoryBound: 0
; FloatMode: 240
; IeeeMode: 1
; LDSByteSize: 0 bytes/workgroup (compile time only)
; SGPRBlocks: 3
; VGPRBlocks: 3
; NumSGPRsForWavesPerEU: 28
; NumVGPRsForWavesPerEU: 13
; Occupancy: 10
; WaveLimiterHint : 0
; COMPUTE_PGM_RSRC2:SCRATCH_EN: 0
; COMPUTE_PGM_RSRC2:USER_SGPR: 6
; COMPUTE_PGM_RSRC2:TRAP_HANDLER: 0
; COMPUTE_PGM_RSRC2:TGID_X_EN: 1
; COMPUTE_PGM_RSRC2:TGID_Y_EN: 0
; COMPUTE_PGM_RSRC2:TGID_Z_EN: 0
; COMPUTE_PGM_RSRC2:TIDIG_COMP_CNT: 0
	.section	.text._ZN9rocsparseL12ell2csr_fillILj256E21rocsparse_complex_numIfEllEEvT2_S3_S3_PKS3_PKT0_21rocsparse_index_base_PKT1_PS3_PS6_S9_,"axG",@progbits,_ZN9rocsparseL12ell2csr_fillILj256E21rocsparse_complex_numIfEllEEvT2_S3_S3_PKS3_PKT0_21rocsparse_index_base_PKT1_PS3_PS6_S9_,comdat
	.globl	_ZN9rocsparseL12ell2csr_fillILj256E21rocsparse_complex_numIfEllEEvT2_S3_S3_PKS3_PKT0_21rocsparse_index_base_PKT1_PS3_PS6_S9_ ; -- Begin function _ZN9rocsparseL12ell2csr_fillILj256E21rocsparse_complex_numIfEllEEvT2_S3_S3_PKS3_PKT0_21rocsparse_index_base_PKT1_PS3_PS6_S9_
	.p2align	8
	.type	_ZN9rocsparseL12ell2csr_fillILj256E21rocsparse_complex_numIfEllEEvT2_S3_S3_PKS3_PKT0_21rocsparse_index_base_PKT1_PS3_PS6_S9_,@function
_ZN9rocsparseL12ell2csr_fillILj256E21rocsparse_complex_numIfEllEEvT2_S3_S3_PKS3_PKT0_21rocsparse_index_base_PKT1_PS3_PS6_S9_: ; @_ZN9rocsparseL12ell2csr_fillILj256E21rocsparse_complex_numIfEllEEvT2_S3_S3_PKS3_PKT0_21rocsparse_index_base_PKT1_PS3_PS6_S9_
; %bb.0:
	s_load_dwordx4 s[0:3], s[4:5], 0x0
	v_lshl_or_b32 v0, s6, 8, v0
	v_mov_b32_e32 v1, 0
	s_waitcnt lgkmcnt(0)
	v_cmp_gt_i64_e32 vcc, s[0:1], v[0:1]
	s_and_saveexec_b64 s[6:7], vcc
	s_cbranch_execz .LBB13_6
; %bb.1:
	s_load_dwordx2 s[6:7], s[4:5], 0x10
	s_waitcnt lgkmcnt(0)
	v_cmp_lt_i64_e64 s[8:9], s[6:7], 1
	s_and_b64 vcc, exec, s[8:9]
	s_cbranch_vccnz .LBB13_6
; %bb.2:
	s_load_dwordx4 s[12:15], s[4:5], 0x30
	v_lshlrev_b64 v[0:1], 3, v[0:1]
	s_mov_b64 s[16:17], 0
	s_waitcnt lgkmcnt(0)
	v_mov_b32_e32 v3, s13
	v_add_co_u32_e32 v2, vcc, s12, v0
	v_addc_co_u32_e32 v3, vcc, v3, v1, vcc
	global_load_dwordx2 v[2:3], v[2:3], off
	s_load_dwordx2 s[20:21], s[4:5], 0x40
	s_load_dword s12, s[4:5], 0x48
	s_load_dwordx4 s[8:11], s[4:5], 0x18
	s_load_dword s18, s[4:5], 0x28
	s_mov_b32 s13, 0
	s_lshl_b64 s[4:5], s[0:1], 3
	s_waitcnt lgkmcnt(0)
	s_lshl_b64 s[0:1], s[12:13], 3
	v_mov_b32_e32 v6, s1
	v_mov_b32_e32 v4, s21
	;; [unrolled: 1-line block ×4, first 2 shown]
	s_waitcnt vmcnt(0)
	v_lshlrev_b64 v[2:3], 3, v[2:3]
	v_subrev_co_u32_e32 v7, vcc, s0, v2
	v_subb_co_u32_e32 v6, vcc, v3, v6, vcc
	v_add_co_u32_e32 v2, vcc, s20, v7
	v_addc_co_u32_e32 v3, vcc, v4, v6, vcc
	v_add_co_u32_e32 v4, vcc, s14, v7
	v_addc_co_u32_e32 v5, vcc, v5, v6, vcc
                                        ; implicit-def: $sgpr14_sgpr15
	s_branch .LBB13_4
.LBB13_3:                               ;   in Loop: Header=BB13_4 Depth=1
	s_or_b64 exec, exec, s[0:1]
	s_and_b64 s[0:1], exec, s[14:15]
	s_or_b64 s[16:17], s[0:1], s[16:17]
	s_andn2_b64 exec, exec, s[16:17]
	s_cbranch_execz .LBB13_6
.LBB13_4:                               ; =>This Inner Loop Header: Depth=1
	v_add_co_u32_e32 v6, vcc, s8, v0
	v_addc_co_u32_e32 v7, vcc, v8, v1, vcc
	global_load_dwordx2 v[6:7], v[6:7], off
	s_or_b64 s[14:15], s[14:15], exec
	s_waitcnt vmcnt(0)
	v_subrev_co_u32_e32 v6, vcc, s18, v6
	v_subbrev_co_u32_e32 v7, vcc, 0, v7, vcc
	v_cmp_lt_i64_e32 vcc, -1, v[6:7]
	v_cmp_gt_i64_e64 s[0:1], s[2:3], v[6:7]
	s_and_b64 s[20:21], vcc, s[0:1]
	s_and_saveexec_b64 s[0:1], s[20:21]
	s_cbranch_execz .LBB13_3
; %bb.5:                                ;   in Loop: Header=BB13_4 Depth=1
	v_add_co_u32_e32 v6, vcc, s12, v6
	v_addc_co_u32_e32 v7, vcc, 0, v7, vcc
	global_store_dwordx2 v[4:5], v[6:7], off
	v_mov_b32_e32 v7, s11
	v_add_co_u32_e32 v6, vcc, s10, v0
	v_addc_co_u32_e32 v7, vcc, v7, v1, vcc
	global_load_dwordx2 v[6:7], v[6:7], off
	s_add_u32 s6, s6, -1
	v_add_co_u32_e32 v4, vcc, 8, v4
	v_addc_co_u32_e32 v5, vcc, 0, v5, vcc
	s_addc_u32 s7, s7, -1
	v_mov_b32_e32 v9, s5
	v_add_co_u32_e32 v0, vcc, s4, v0
	s_cmp_eq_u64 s[6:7], 0
	v_addc_co_u32_e32 v1, vcc, v1, v9, vcc
	s_cselect_b64 s[20:21], -1, 0
	s_andn2_b64 s[14:15], s[14:15], exec
	s_and_b64 s[20:21], s[20:21], exec
	s_or_b64 s[14:15], s[14:15], s[20:21]
	s_waitcnt vmcnt(0)
	global_store_dwordx2 v[2:3], v[6:7], off
	v_add_co_u32_e32 v2, vcc, 8, v2
	v_addc_co_u32_e32 v3, vcc, 0, v3, vcc
	s_branch .LBB13_3
.LBB13_6:
	s_endpgm
	.section	.rodata,"a",@progbits
	.p2align	6, 0x0
	.amdhsa_kernel _ZN9rocsparseL12ell2csr_fillILj256E21rocsparse_complex_numIfEllEEvT2_S3_S3_PKS3_PKT0_21rocsparse_index_base_PKT1_PS3_PS6_S9_
		.amdhsa_group_segment_fixed_size 0
		.amdhsa_private_segment_fixed_size 0
		.amdhsa_kernarg_size 76
		.amdhsa_user_sgpr_count 6
		.amdhsa_user_sgpr_private_segment_buffer 1
		.amdhsa_user_sgpr_dispatch_ptr 0
		.amdhsa_user_sgpr_queue_ptr 0
		.amdhsa_user_sgpr_kernarg_segment_ptr 1
		.amdhsa_user_sgpr_dispatch_id 0
		.amdhsa_user_sgpr_flat_scratch_init 0
		.amdhsa_user_sgpr_private_segment_size 0
		.amdhsa_uses_dynamic_stack 0
		.amdhsa_system_sgpr_private_segment_wavefront_offset 0
		.amdhsa_system_sgpr_workgroup_id_x 1
		.amdhsa_system_sgpr_workgroup_id_y 0
		.amdhsa_system_sgpr_workgroup_id_z 0
		.amdhsa_system_sgpr_workgroup_info 0
		.amdhsa_system_vgpr_workitem_id 0
		.amdhsa_next_free_vgpr 10
		.amdhsa_next_free_sgpr 22
		.amdhsa_reserve_vcc 1
		.amdhsa_reserve_flat_scratch 0
		.amdhsa_float_round_mode_32 0
		.amdhsa_float_round_mode_16_64 0
		.amdhsa_float_denorm_mode_32 3
		.amdhsa_float_denorm_mode_16_64 3
		.amdhsa_dx10_clamp 1
		.amdhsa_ieee_mode 1
		.amdhsa_fp16_overflow 0
		.amdhsa_exception_fp_ieee_invalid_op 0
		.amdhsa_exception_fp_denorm_src 0
		.amdhsa_exception_fp_ieee_div_zero 0
		.amdhsa_exception_fp_ieee_overflow 0
		.amdhsa_exception_fp_ieee_underflow 0
		.amdhsa_exception_fp_ieee_inexact 0
		.amdhsa_exception_int_div_zero 0
	.end_amdhsa_kernel
	.section	.text._ZN9rocsparseL12ell2csr_fillILj256E21rocsparse_complex_numIfEllEEvT2_S3_S3_PKS3_PKT0_21rocsparse_index_base_PKT1_PS3_PS6_S9_,"axG",@progbits,_ZN9rocsparseL12ell2csr_fillILj256E21rocsparse_complex_numIfEllEEvT2_S3_S3_PKS3_PKT0_21rocsparse_index_base_PKT1_PS3_PS6_S9_,comdat
.Lfunc_end13:
	.size	_ZN9rocsparseL12ell2csr_fillILj256E21rocsparse_complex_numIfEllEEvT2_S3_S3_PKS3_PKT0_21rocsparse_index_base_PKT1_PS3_PS6_S9_, .Lfunc_end13-_ZN9rocsparseL12ell2csr_fillILj256E21rocsparse_complex_numIfEllEEvT2_S3_S3_PKS3_PKT0_21rocsparse_index_base_PKT1_PS3_PS6_S9_
                                        ; -- End function
	.set _ZN9rocsparseL12ell2csr_fillILj256E21rocsparse_complex_numIfEllEEvT2_S3_S3_PKS3_PKT0_21rocsparse_index_base_PKT1_PS3_PS6_S9_.num_vgpr, 10
	.set _ZN9rocsparseL12ell2csr_fillILj256E21rocsparse_complex_numIfEllEEvT2_S3_S3_PKS3_PKT0_21rocsparse_index_base_PKT1_PS3_PS6_S9_.num_agpr, 0
	.set _ZN9rocsparseL12ell2csr_fillILj256E21rocsparse_complex_numIfEllEEvT2_S3_S3_PKS3_PKT0_21rocsparse_index_base_PKT1_PS3_PS6_S9_.numbered_sgpr, 22
	.set _ZN9rocsparseL12ell2csr_fillILj256E21rocsparse_complex_numIfEllEEvT2_S3_S3_PKS3_PKT0_21rocsparse_index_base_PKT1_PS3_PS6_S9_.num_named_barrier, 0
	.set _ZN9rocsparseL12ell2csr_fillILj256E21rocsparse_complex_numIfEllEEvT2_S3_S3_PKS3_PKT0_21rocsparse_index_base_PKT1_PS3_PS6_S9_.private_seg_size, 0
	.set _ZN9rocsparseL12ell2csr_fillILj256E21rocsparse_complex_numIfEllEEvT2_S3_S3_PKS3_PKT0_21rocsparse_index_base_PKT1_PS3_PS6_S9_.uses_vcc, 1
	.set _ZN9rocsparseL12ell2csr_fillILj256E21rocsparse_complex_numIfEllEEvT2_S3_S3_PKS3_PKT0_21rocsparse_index_base_PKT1_PS3_PS6_S9_.uses_flat_scratch, 0
	.set _ZN9rocsparseL12ell2csr_fillILj256E21rocsparse_complex_numIfEllEEvT2_S3_S3_PKS3_PKT0_21rocsparse_index_base_PKT1_PS3_PS6_S9_.has_dyn_sized_stack, 0
	.set _ZN9rocsparseL12ell2csr_fillILj256E21rocsparse_complex_numIfEllEEvT2_S3_S3_PKS3_PKT0_21rocsparse_index_base_PKT1_PS3_PS6_S9_.has_recursion, 0
	.set _ZN9rocsparseL12ell2csr_fillILj256E21rocsparse_complex_numIfEllEEvT2_S3_S3_PKS3_PKT0_21rocsparse_index_base_PKT1_PS3_PS6_S9_.has_indirect_call, 0
	.section	.AMDGPU.csdata,"",@progbits
; Kernel info:
; codeLenInByte = 400
; TotalNumSgprs: 26
; NumVgprs: 10
; ScratchSize: 0
; MemoryBound: 0
; FloatMode: 240
; IeeeMode: 1
; LDSByteSize: 0 bytes/workgroup (compile time only)
; SGPRBlocks: 3
; VGPRBlocks: 2
; NumSGPRsForWavesPerEU: 26
; NumVGPRsForWavesPerEU: 10
; Occupancy: 10
; WaveLimiterHint : 0
; COMPUTE_PGM_RSRC2:SCRATCH_EN: 0
; COMPUTE_PGM_RSRC2:USER_SGPR: 6
; COMPUTE_PGM_RSRC2:TRAP_HANDLER: 0
; COMPUTE_PGM_RSRC2:TGID_X_EN: 1
; COMPUTE_PGM_RSRC2:TGID_Y_EN: 0
; COMPUTE_PGM_RSRC2:TGID_Z_EN: 0
; COMPUTE_PGM_RSRC2:TIDIG_COMP_CNT: 0
	.section	.text._ZN9rocsparseL12ell2csr_fillILj256EdllEEvT2_S1_S1_PKS1_PKT0_21rocsparse_index_base_PKT1_PS1_PS4_S7_,"axG",@progbits,_ZN9rocsparseL12ell2csr_fillILj256EdllEEvT2_S1_S1_PKS1_PKT0_21rocsparse_index_base_PKT1_PS1_PS4_S7_,comdat
	.globl	_ZN9rocsparseL12ell2csr_fillILj256EdllEEvT2_S1_S1_PKS1_PKT0_21rocsparse_index_base_PKT1_PS1_PS4_S7_ ; -- Begin function _ZN9rocsparseL12ell2csr_fillILj256EdllEEvT2_S1_S1_PKS1_PKT0_21rocsparse_index_base_PKT1_PS1_PS4_S7_
	.p2align	8
	.type	_ZN9rocsparseL12ell2csr_fillILj256EdllEEvT2_S1_S1_PKS1_PKT0_21rocsparse_index_base_PKT1_PS1_PS4_S7_,@function
_ZN9rocsparseL12ell2csr_fillILj256EdllEEvT2_S1_S1_PKS1_PKT0_21rocsparse_index_base_PKT1_PS1_PS4_S7_: ; @_ZN9rocsparseL12ell2csr_fillILj256EdllEEvT2_S1_S1_PKS1_PKT0_21rocsparse_index_base_PKT1_PS1_PS4_S7_
; %bb.0:
	s_load_dwordx4 s[0:3], s[4:5], 0x0
	v_lshl_or_b32 v0, s6, 8, v0
	v_mov_b32_e32 v1, 0
	s_waitcnt lgkmcnt(0)
	v_cmp_gt_i64_e32 vcc, s[0:1], v[0:1]
	s_and_saveexec_b64 s[6:7], vcc
	s_cbranch_execz .LBB14_6
; %bb.1:
	s_load_dwordx2 s[6:7], s[4:5], 0x10
	s_waitcnt lgkmcnt(0)
	v_cmp_lt_i64_e64 s[8:9], s[6:7], 1
	s_and_b64 vcc, exec, s[8:9]
	s_cbranch_vccnz .LBB14_6
; %bb.2:
	s_load_dwordx4 s[12:15], s[4:5], 0x30
	v_lshlrev_b64 v[0:1], 3, v[0:1]
	s_mov_b64 s[16:17], 0
	s_waitcnt lgkmcnt(0)
	v_mov_b32_e32 v3, s13
	v_add_co_u32_e32 v2, vcc, s12, v0
	v_addc_co_u32_e32 v3, vcc, v3, v1, vcc
	global_load_dwordx2 v[2:3], v[2:3], off
	s_load_dwordx2 s[20:21], s[4:5], 0x40
	s_load_dword s12, s[4:5], 0x48
	s_load_dwordx4 s[8:11], s[4:5], 0x18
	s_load_dword s18, s[4:5], 0x28
	s_mov_b32 s13, 0
	s_lshl_b64 s[4:5], s[0:1], 3
	s_waitcnt lgkmcnt(0)
	s_lshl_b64 s[0:1], s[12:13], 3
	v_mov_b32_e32 v6, s1
	v_mov_b32_e32 v4, s21
	v_mov_b32_e32 v5, s15
	v_mov_b32_e32 v8, s9
	s_waitcnt vmcnt(0)
	v_lshlrev_b64 v[2:3], 3, v[2:3]
	v_subrev_co_u32_e32 v7, vcc, s0, v2
	v_subb_co_u32_e32 v6, vcc, v3, v6, vcc
	v_add_co_u32_e32 v2, vcc, s20, v7
	v_addc_co_u32_e32 v3, vcc, v4, v6, vcc
	v_add_co_u32_e32 v4, vcc, s14, v7
	v_addc_co_u32_e32 v5, vcc, v5, v6, vcc
                                        ; implicit-def: $sgpr14_sgpr15
	s_branch .LBB14_4
.LBB14_3:                               ;   in Loop: Header=BB14_4 Depth=1
	s_or_b64 exec, exec, s[0:1]
	s_and_b64 s[0:1], exec, s[14:15]
	s_or_b64 s[16:17], s[0:1], s[16:17]
	s_andn2_b64 exec, exec, s[16:17]
	s_cbranch_execz .LBB14_6
.LBB14_4:                               ; =>This Inner Loop Header: Depth=1
	v_add_co_u32_e32 v6, vcc, s8, v0
	v_addc_co_u32_e32 v7, vcc, v8, v1, vcc
	global_load_dwordx2 v[6:7], v[6:7], off
	s_or_b64 s[14:15], s[14:15], exec
	s_waitcnt vmcnt(0)
	v_subrev_co_u32_e32 v6, vcc, s18, v6
	v_subbrev_co_u32_e32 v7, vcc, 0, v7, vcc
	v_cmp_lt_i64_e32 vcc, -1, v[6:7]
	v_cmp_gt_i64_e64 s[0:1], s[2:3], v[6:7]
	s_and_b64 s[20:21], vcc, s[0:1]
	s_and_saveexec_b64 s[0:1], s[20:21]
	s_cbranch_execz .LBB14_3
; %bb.5:                                ;   in Loop: Header=BB14_4 Depth=1
	v_mov_b32_e32 v10, s11
	v_add_co_u32_e32 v9, vcc, s10, v0
	v_addc_co_u32_e32 v10, vcc, v10, v1, vcc
	global_load_dwordx2 v[9:10], v[9:10], off
	v_add_co_u32_e32 v6, vcc, s12, v6
	v_addc_co_u32_e32 v7, vcc, 0, v7, vcc
	s_add_u32 s6, s6, -1
	global_store_dwordx2 v[4:5], v[6:7], off
	v_add_co_u32_e32 v4, vcc, 8, v4
	v_addc_co_u32_e32 v5, vcc, 0, v5, vcc
	s_addc_u32 s7, s7, -1
	v_mov_b32_e32 v11, s5
	v_add_co_u32_e32 v0, vcc, s4, v0
	s_cmp_eq_u64 s[6:7], 0
	v_addc_co_u32_e32 v1, vcc, v1, v11, vcc
	s_cselect_b64 s[20:21], -1, 0
	s_andn2_b64 s[14:15], s[14:15], exec
	s_and_b64 s[20:21], s[20:21], exec
	s_or_b64 s[14:15], s[14:15], s[20:21]
	s_waitcnt vmcnt(1)
	global_store_dwordx2 v[2:3], v[9:10], off
	v_add_co_u32_e32 v2, vcc, 8, v2
	v_addc_co_u32_e32 v3, vcc, 0, v3, vcc
	s_branch .LBB14_3
.LBB14_6:
	s_endpgm
	.section	.rodata,"a",@progbits
	.p2align	6, 0x0
	.amdhsa_kernel _ZN9rocsparseL12ell2csr_fillILj256EdllEEvT2_S1_S1_PKS1_PKT0_21rocsparse_index_base_PKT1_PS1_PS4_S7_
		.amdhsa_group_segment_fixed_size 0
		.amdhsa_private_segment_fixed_size 0
		.amdhsa_kernarg_size 76
		.amdhsa_user_sgpr_count 6
		.amdhsa_user_sgpr_private_segment_buffer 1
		.amdhsa_user_sgpr_dispatch_ptr 0
		.amdhsa_user_sgpr_queue_ptr 0
		.amdhsa_user_sgpr_kernarg_segment_ptr 1
		.amdhsa_user_sgpr_dispatch_id 0
		.amdhsa_user_sgpr_flat_scratch_init 0
		.amdhsa_user_sgpr_private_segment_size 0
		.amdhsa_uses_dynamic_stack 0
		.amdhsa_system_sgpr_private_segment_wavefront_offset 0
		.amdhsa_system_sgpr_workgroup_id_x 1
		.amdhsa_system_sgpr_workgroup_id_y 0
		.amdhsa_system_sgpr_workgroup_id_z 0
		.amdhsa_system_sgpr_workgroup_info 0
		.amdhsa_system_vgpr_workitem_id 0
		.amdhsa_next_free_vgpr 12
		.amdhsa_next_free_sgpr 22
		.amdhsa_reserve_vcc 1
		.amdhsa_reserve_flat_scratch 0
		.amdhsa_float_round_mode_32 0
		.amdhsa_float_round_mode_16_64 0
		.amdhsa_float_denorm_mode_32 3
		.amdhsa_float_denorm_mode_16_64 3
		.amdhsa_dx10_clamp 1
		.amdhsa_ieee_mode 1
		.amdhsa_fp16_overflow 0
		.amdhsa_exception_fp_ieee_invalid_op 0
		.amdhsa_exception_fp_denorm_src 0
		.amdhsa_exception_fp_ieee_div_zero 0
		.amdhsa_exception_fp_ieee_overflow 0
		.amdhsa_exception_fp_ieee_underflow 0
		.amdhsa_exception_fp_ieee_inexact 0
		.amdhsa_exception_int_div_zero 0
	.end_amdhsa_kernel
	.section	.text._ZN9rocsparseL12ell2csr_fillILj256EdllEEvT2_S1_S1_PKS1_PKT0_21rocsparse_index_base_PKT1_PS1_PS4_S7_,"axG",@progbits,_ZN9rocsparseL12ell2csr_fillILj256EdllEEvT2_S1_S1_PKS1_PKT0_21rocsparse_index_base_PKT1_PS1_PS4_S7_,comdat
.Lfunc_end14:
	.size	_ZN9rocsparseL12ell2csr_fillILj256EdllEEvT2_S1_S1_PKS1_PKT0_21rocsparse_index_base_PKT1_PS1_PS4_S7_, .Lfunc_end14-_ZN9rocsparseL12ell2csr_fillILj256EdllEEvT2_S1_S1_PKS1_PKT0_21rocsparse_index_base_PKT1_PS1_PS4_S7_
                                        ; -- End function
	.set _ZN9rocsparseL12ell2csr_fillILj256EdllEEvT2_S1_S1_PKS1_PKT0_21rocsparse_index_base_PKT1_PS1_PS4_S7_.num_vgpr, 12
	.set _ZN9rocsparseL12ell2csr_fillILj256EdllEEvT2_S1_S1_PKS1_PKT0_21rocsparse_index_base_PKT1_PS1_PS4_S7_.num_agpr, 0
	.set _ZN9rocsparseL12ell2csr_fillILj256EdllEEvT2_S1_S1_PKS1_PKT0_21rocsparse_index_base_PKT1_PS1_PS4_S7_.numbered_sgpr, 22
	.set _ZN9rocsparseL12ell2csr_fillILj256EdllEEvT2_S1_S1_PKS1_PKT0_21rocsparse_index_base_PKT1_PS1_PS4_S7_.num_named_barrier, 0
	.set _ZN9rocsparseL12ell2csr_fillILj256EdllEEvT2_S1_S1_PKS1_PKT0_21rocsparse_index_base_PKT1_PS1_PS4_S7_.private_seg_size, 0
	.set _ZN9rocsparseL12ell2csr_fillILj256EdllEEvT2_S1_S1_PKS1_PKT0_21rocsparse_index_base_PKT1_PS1_PS4_S7_.uses_vcc, 1
	.set _ZN9rocsparseL12ell2csr_fillILj256EdllEEvT2_S1_S1_PKS1_PKT0_21rocsparse_index_base_PKT1_PS1_PS4_S7_.uses_flat_scratch, 0
	.set _ZN9rocsparseL12ell2csr_fillILj256EdllEEvT2_S1_S1_PKS1_PKT0_21rocsparse_index_base_PKT1_PS1_PS4_S7_.has_dyn_sized_stack, 0
	.set _ZN9rocsparseL12ell2csr_fillILj256EdllEEvT2_S1_S1_PKS1_PKT0_21rocsparse_index_base_PKT1_PS1_PS4_S7_.has_recursion, 0
	.set _ZN9rocsparseL12ell2csr_fillILj256EdllEEvT2_S1_S1_PKS1_PKT0_21rocsparse_index_base_PKT1_PS1_PS4_S7_.has_indirect_call, 0
	.section	.AMDGPU.csdata,"",@progbits
; Kernel info:
; codeLenInByte = 400
; TotalNumSgprs: 26
; NumVgprs: 12
; ScratchSize: 0
; MemoryBound: 0
; FloatMode: 240
; IeeeMode: 1
; LDSByteSize: 0 bytes/workgroup (compile time only)
; SGPRBlocks: 3
; VGPRBlocks: 2
; NumSGPRsForWavesPerEU: 26
; NumVGPRsForWavesPerEU: 12
; Occupancy: 10
; WaveLimiterHint : 0
; COMPUTE_PGM_RSRC2:SCRATCH_EN: 0
; COMPUTE_PGM_RSRC2:USER_SGPR: 6
; COMPUTE_PGM_RSRC2:TRAP_HANDLER: 0
; COMPUTE_PGM_RSRC2:TGID_X_EN: 1
; COMPUTE_PGM_RSRC2:TGID_Y_EN: 0
; COMPUTE_PGM_RSRC2:TGID_Z_EN: 0
; COMPUTE_PGM_RSRC2:TIDIG_COMP_CNT: 0
	.section	.text._ZN9rocsparseL12ell2csr_fillILj256E21rocsparse_complex_numIdEllEEvT2_S3_S3_PKS3_PKT0_21rocsparse_index_base_PKT1_PS3_PS6_S9_,"axG",@progbits,_ZN9rocsparseL12ell2csr_fillILj256E21rocsparse_complex_numIdEllEEvT2_S3_S3_PKS3_PKT0_21rocsparse_index_base_PKT1_PS3_PS6_S9_,comdat
	.globl	_ZN9rocsparseL12ell2csr_fillILj256E21rocsparse_complex_numIdEllEEvT2_S3_S3_PKS3_PKT0_21rocsparse_index_base_PKT1_PS3_PS6_S9_ ; -- Begin function _ZN9rocsparseL12ell2csr_fillILj256E21rocsparse_complex_numIdEllEEvT2_S3_S3_PKS3_PKT0_21rocsparse_index_base_PKT1_PS3_PS6_S9_
	.p2align	8
	.type	_ZN9rocsparseL12ell2csr_fillILj256E21rocsparse_complex_numIdEllEEvT2_S3_S3_PKS3_PKT0_21rocsparse_index_base_PKT1_PS3_PS6_S9_,@function
_ZN9rocsparseL12ell2csr_fillILj256E21rocsparse_complex_numIdEllEEvT2_S3_S3_PKS3_PKT0_21rocsparse_index_base_PKT1_PS3_PS6_S9_: ; @_ZN9rocsparseL12ell2csr_fillILj256E21rocsparse_complex_numIdEllEEvT2_S3_S3_PKS3_PKT0_21rocsparse_index_base_PKT1_PS3_PS6_S9_
; %bb.0:
	s_load_dwordx4 s[0:3], s[4:5], 0x0
	v_lshl_or_b32 v0, s6, 8, v0
	v_mov_b32_e32 v1, 0
	s_waitcnt lgkmcnt(0)
	v_cmp_gt_i64_e32 vcc, s[0:1], v[0:1]
	s_and_saveexec_b64 s[6:7], vcc
	s_cbranch_execz .LBB15_6
; %bb.1:
	s_load_dwordx2 s[6:7], s[4:5], 0x10
	s_waitcnt lgkmcnt(0)
	v_cmp_lt_i64_e64 s[8:9], s[6:7], 1
	s_and_b64 vcc, exec, s[8:9]
	s_cbranch_vccnz .LBB15_6
; %bb.2:
	s_load_dwordx4 s[8:11], s[4:5], 0x30
	v_lshlrev_b64 v[2:3], 3, v[0:1]
	v_lshlrev_b64 v[6:7], 4, v[0:1]
	s_lshl_b64 s[16:17], s[0:1], 4
	s_waitcnt lgkmcnt(0)
	v_mov_b32_e32 v5, s9
	v_add_co_u32_e32 v4, vcc, s8, v2
	v_addc_co_u32_e32 v5, vcc, v5, v3, vcc
	global_load_dwordx2 v[4:5], v[4:5], off
	s_load_dwordx2 s[20:21], s[4:5], 0x40
	s_load_dwordx4 s[12:15], s[4:5], 0x18
	s_load_dword s18, s[4:5], 0x28
	s_load_dword s8, s[4:5], 0x48
	s_mov_b32 s9, 0
	s_lshl_b64 s[4:5], s[0:1], 3
	s_waitcnt lgkmcnt(0)
	v_mov_b32_e32 v1, s13
	v_add_co_u32_e32 v0, vcc, s12, v2
	v_addc_co_u32_e32 v1, vcc, v1, v3, vcc
	v_mov_b32_e32 v10, s15
	v_add_co_u32_e32 v2, vcc, s14, v6
	v_addc_co_u32_e32 v3, vcc, v10, v7, vcc
	s_lshl_b64 s[0:1], s[8:9], 4
	v_mov_b32_e32 v11, s1
	s_lshl_b64 s[22:23], s[8:9], 3
	v_mov_b32_e32 v12, s23
	v_mov_b32_e32 v8, s21
	;; [unrolled: 1-line block ×3, first 2 shown]
                                        ; implicit-def: $sgpr12_sgpr13
	s_waitcnt vmcnt(0)
	v_lshlrev_b64 v[6:7], 4, v[4:5]
	v_lshlrev_b64 v[4:5], 3, v[4:5]
	v_subrev_co_u32_e32 v6, vcc, s0, v6
	v_subb_co_u32_e32 v7, vcc, v7, v11, vcc
	v_subrev_co_u32_e32 v10, vcc, s22, v4
	v_subb_co_u32_e32 v11, vcc, v5, v12, vcc
	v_add_co_u32_e32 v4, vcc, s20, v6
	v_addc_co_u32_e32 v5, vcc, v8, v7, vcc
	v_add_co_u32_e32 v6, vcc, s10, v10
	v_addc_co_u32_e32 v7, vcc, v9, v11, vcc
	s_mov_b64 s[10:11], 0
	s_branch .LBB15_4
.LBB15_3:                               ;   in Loop: Header=BB15_4 Depth=1
	s_or_b64 exec, exec, s[0:1]
	s_and_b64 s[0:1], exec, s[12:13]
	s_or_b64 s[10:11], s[0:1], s[10:11]
	s_andn2_b64 exec, exec, s[10:11]
	s_cbranch_execz .LBB15_6
.LBB15_4:                               ; =>This Inner Loop Header: Depth=1
	global_load_dwordx2 v[8:9], v[0:1], off
	s_or_b64 s[12:13], s[12:13], exec
	s_waitcnt vmcnt(0)
	v_subrev_co_u32_e32 v8, vcc, s18, v8
	v_subbrev_co_u32_e32 v9, vcc, 0, v9, vcc
	v_cmp_lt_i64_e32 vcc, -1, v[8:9]
	v_cmp_gt_i64_e64 s[0:1], s[2:3], v[8:9]
	s_and_b64 s[14:15], vcc, s[0:1]
	s_and_saveexec_b64 s[0:1], s[14:15]
	s_cbranch_execz .LBB15_3
; %bb.5:                                ;   in Loop: Header=BB15_4 Depth=1
	global_load_dwordx4 v[10:13], v[2:3], off
	v_add_co_u32_e32 v8, vcc, s8, v8
	v_addc_co_u32_e32 v9, vcc, 0, v9, vcc
	global_store_dwordx2 v[6:7], v[8:9], off
	v_add_co_u32_e32 v6, vcc, 8, v6
	v_addc_co_u32_e32 v7, vcc, 0, v7, vcc
	s_add_u32 s6, s6, -1
	v_mov_b32_e32 v14, s5
	v_add_co_u32_e32 v0, vcc, s4, v0
	s_addc_u32 s7, s7, -1
	v_addc_co_u32_e32 v1, vcc, v1, v14, vcc
	v_mov_b32_e32 v15, s17
	v_add_co_u32_e32 v2, vcc, s16, v2
	s_cmp_eq_u64 s[6:7], 0
	v_addc_co_u32_e32 v3, vcc, v3, v15, vcc
	s_cselect_b64 s[14:15], -1, 0
	s_andn2_b64 s[12:13], s[12:13], exec
	s_and_b64 s[14:15], s[14:15], exec
	s_or_b64 s[12:13], s[12:13], s[14:15]
	s_waitcnt vmcnt(1)
	global_store_dwordx4 v[4:5], v[10:13], off
	v_add_co_u32_e32 v4, vcc, 16, v4
	v_addc_co_u32_e32 v5, vcc, 0, v5, vcc
	s_branch .LBB15_3
.LBB15_6:
	s_endpgm
	.section	.rodata,"a",@progbits
	.p2align	6, 0x0
	.amdhsa_kernel _ZN9rocsparseL12ell2csr_fillILj256E21rocsparse_complex_numIdEllEEvT2_S3_S3_PKS3_PKT0_21rocsparse_index_base_PKT1_PS3_PS6_S9_
		.amdhsa_group_segment_fixed_size 0
		.amdhsa_private_segment_fixed_size 0
		.amdhsa_kernarg_size 76
		.amdhsa_user_sgpr_count 6
		.amdhsa_user_sgpr_private_segment_buffer 1
		.amdhsa_user_sgpr_dispatch_ptr 0
		.amdhsa_user_sgpr_queue_ptr 0
		.amdhsa_user_sgpr_kernarg_segment_ptr 1
		.amdhsa_user_sgpr_dispatch_id 0
		.amdhsa_user_sgpr_flat_scratch_init 0
		.amdhsa_user_sgpr_private_segment_size 0
		.amdhsa_uses_dynamic_stack 0
		.amdhsa_system_sgpr_private_segment_wavefront_offset 0
		.amdhsa_system_sgpr_workgroup_id_x 1
		.amdhsa_system_sgpr_workgroup_id_y 0
		.amdhsa_system_sgpr_workgroup_id_z 0
		.amdhsa_system_sgpr_workgroup_info 0
		.amdhsa_system_vgpr_workitem_id 0
		.amdhsa_next_free_vgpr 16
		.amdhsa_next_free_sgpr 24
		.amdhsa_reserve_vcc 1
		.amdhsa_reserve_flat_scratch 0
		.amdhsa_float_round_mode_32 0
		.amdhsa_float_round_mode_16_64 0
		.amdhsa_float_denorm_mode_32 3
		.amdhsa_float_denorm_mode_16_64 3
		.amdhsa_dx10_clamp 1
		.amdhsa_ieee_mode 1
		.amdhsa_fp16_overflow 0
		.amdhsa_exception_fp_ieee_invalid_op 0
		.amdhsa_exception_fp_denorm_src 0
		.amdhsa_exception_fp_ieee_div_zero 0
		.amdhsa_exception_fp_ieee_overflow 0
		.amdhsa_exception_fp_ieee_underflow 0
		.amdhsa_exception_fp_ieee_inexact 0
		.amdhsa_exception_int_div_zero 0
	.end_amdhsa_kernel
	.section	.text._ZN9rocsparseL12ell2csr_fillILj256E21rocsparse_complex_numIdEllEEvT2_S3_S3_PKS3_PKT0_21rocsparse_index_base_PKT1_PS3_PS6_S9_,"axG",@progbits,_ZN9rocsparseL12ell2csr_fillILj256E21rocsparse_complex_numIdEllEEvT2_S3_S3_PKS3_PKT0_21rocsparse_index_base_PKT1_PS3_PS6_S9_,comdat
.Lfunc_end15:
	.size	_ZN9rocsparseL12ell2csr_fillILj256E21rocsparse_complex_numIdEllEEvT2_S3_S3_PKS3_PKT0_21rocsparse_index_base_PKT1_PS3_PS6_S9_, .Lfunc_end15-_ZN9rocsparseL12ell2csr_fillILj256E21rocsparse_complex_numIdEllEEvT2_S3_S3_PKS3_PKT0_21rocsparse_index_base_PKT1_PS3_PS6_S9_
                                        ; -- End function
	.set _ZN9rocsparseL12ell2csr_fillILj256E21rocsparse_complex_numIdEllEEvT2_S3_S3_PKS3_PKT0_21rocsparse_index_base_PKT1_PS3_PS6_S9_.num_vgpr, 16
	.set _ZN9rocsparseL12ell2csr_fillILj256E21rocsparse_complex_numIdEllEEvT2_S3_S3_PKS3_PKT0_21rocsparse_index_base_PKT1_PS3_PS6_S9_.num_agpr, 0
	.set _ZN9rocsparseL12ell2csr_fillILj256E21rocsparse_complex_numIdEllEEvT2_S3_S3_PKS3_PKT0_21rocsparse_index_base_PKT1_PS3_PS6_S9_.numbered_sgpr, 24
	.set _ZN9rocsparseL12ell2csr_fillILj256E21rocsparse_complex_numIdEllEEvT2_S3_S3_PKS3_PKT0_21rocsparse_index_base_PKT1_PS3_PS6_S9_.num_named_barrier, 0
	.set _ZN9rocsparseL12ell2csr_fillILj256E21rocsparse_complex_numIdEllEEvT2_S3_S3_PKS3_PKT0_21rocsparse_index_base_PKT1_PS3_PS6_S9_.private_seg_size, 0
	.set _ZN9rocsparseL12ell2csr_fillILj256E21rocsparse_complex_numIdEllEEvT2_S3_S3_PKS3_PKT0_21rocsparse_index_base_PKT1_PS3_PS6_S9_.uses_vcc, 1
	.set _ZN9rocsparseL12ell2csr_fillILj256E21rocsparse_complex_numIdEllEEvT2_S3_S3_PKS3_PKT0_21rocsparse_index_base_PKT1_PS3_PS6_S9_.uses_flat_scratch, 0
	.set _ZN9rocsparseL12ell2csr_fillILj256E21rocsparse_complex_numIdEllEEvT2_S3_S3_PKS3_PKT0_21rocsparse_index_base_PKT1_PS3_PS6_S9_.has_dyn_sized_stack, 0
	.set _ZN9rocsparseL12ell2csr_fillILj256E21rocsparse_complex_numIdEllEEvT2_S3_S3_PKS3_PKT0_21rocsparse_index_base_PKT1_PS3_PS6_S9_.has_recursion, 0
	.set _ZN9rocsparseL12ell2csr_fillILj256E21rocsparse_complex_numIdEllEEvT2_S3_S3_PKS3_PKT0_21rocsparse_index_base_PKT1_PS3_PS6_S9_.has_indirect_call, 0
	.section	.AMDGPU.csdata,"",@progbits
; Kernel info:
; codeLenInByte = 448
; TotalNumSgprs: 28
; NumVgprs: 16
; ScratchSize: 0
; MemoryBound: 0
; FloatMode: 240
; IeeeMode: 1
; LDSByteSize: 0 bytes/workgroup (compile time only)
; SGPRBlocks: 3
; VGPRBlocks: 3
; NumSGPRsForWavesPerEU: 28
; NumVGPRsForWavesPerEU: 16
; Occupancy: 10
; WaveLimiterHint : 0
; COMPUTE_PGM_RSRC2:SCRATCH_EN: 0
; COMPUTE_PGM_RSRC2:USER_SGPR: 6
; COMPUTE_PGM_RSRC2:TRAP_HANDLER: 0
; COMPUTE_PGM_RSRC2:TGID_X_EN: 1
; COMPUTE_PGM_RSRC2:TGID_Y_EN: 0
; COMPUTE_PGM_RSRC2:TGID_Z_EN: 0
; COMPUTE_PGM_RSRC2:TIDIG_COMP_CNT: 0
	.section	.text._ZN9rocsparseL19ell2csr_nnz_per_rowILj256EiiEEvT1_S1_S1_PKS1_21rocsparse_index_base_PT0_S4_,"axG",@progbits,_ZN9rocsparseL19ell2csr_nnz_per_rowILj256EiiEEvT1_S1_S1_PKS1_21rocsparse_index_base_PT0_S4_,comdat
	.globl	_ZN9rocsparseL19ell2csr_nnz_per_rowILj256EiiEEvT1_S1_S1_PKS1_21rocsparse_index_base_PT0_S4_ ; -- Begin function _ZN9rocsparseL19ell2csr_nnz_per_rowILj256EiiEEvT1_S1_S1_PKS1_21rocsparse_index_base_PT0_S4_
	.p2align	8
	.type	_ZN9rocsparseL19ell2csr_nnz_per_rowILj256EiiEEvT1_S1_S1_PKS1_21rocsparse_index_base_PT0_S4_,@function
_ZN9rocsparseL19ell2csr_nnz_per_rowILj256EiiEEvT1_S1_S1_PKS1_21rocsparse_index_base_PT0_S4_: ; @_ZN9rocsparseL19ell2csr_nnz_per_rowILj256EiiEEvT1_S1_S1_PKS1_21rocsparse_index_base_PT0_S4_
; %bb.0:
	s_load_dwordx4 s[8:11], s[4:5], 0x0
	v_lshl_or_b32 v0, s6, 8, v0
	s_waitcnt lgkmcnt(0)
	v_cmp_gt_i32_e32 vcc, s8, v0
	s_and_saveexec_b64 s[0:1], vcc
	s_cbranch_execz .LBB16_11
; %bb.1:
	s_load_dwordx2 s[2:3], s[4:5], 0x20
	v_cmp_eq_u32_e32 vcc, 0, v0
	s_and_saveexec_b64 s[0:1], vcc
	s_cbranch_execz .LBB16_3
; %bb.2:
	s_load_dword s6, s[4:5], 0x28
	v_mov_b32_e32 v1, 0
	s_waitcnt lgkmcnt(0)
	v_mov_b32_e32 v2, s6
	global_store_dword v1, v2, s[2:3]
.LBB16_3:
	s_or_b64 exec, exec, s[0:1]
	s_cmp_lt_i32 s10, 1
	s_cbranch_scc1 .LBB16_9
; %bb.4:
	s_load_dwordx2 s[6:7], s[4:5], 0x10
	s_load_dword s11, s[4:5], 0x18
	s_mov_b32 s14, 0
	s_mov_b64 s[4:5], 0
	v_mov_b32_e32 v1, v0
	s_waitcnt lgkmcnt(0)
	v_mov_b32_e32 v3, s7
                                        ; implicit-def: $sgpr12_sgpr13
	s_branch .LBB16_6
.LBB16_5:                               ;   in Loop: Header=BB16_6 Depth=1
	s_or_b64 exec, exec, s[0:1]
	s_and_b64 s[0:1], exec, s[12:13]
	s_or_b64 s[4:5], s[0:1], s[4:5]
	s_andn2_b64 exec, exec, s[4:5]
	s_cbranch_execz .LBB16_8
.LBB16_6:                               ; =>This Inner Loop Header: Depth=1
	v_ashrrev_i32_e32 v2, 31, v1
	v_lshlrev_b64 v[4:5], 2, v[1:2]
	v_mov_b32_e32 v2, s14
	v_add_co_u32_e32 v4, vcc, s6, v4
	v_addc_co_u32_e32 v5, vcc, v3, v5, vcc
	global_load_dword v4, v[4:5], off
	s_or_b64 s[12:13], s[12:13], exec
	s_waitcnt vmcnt(0)
	v_subrev_u32_e32 v4, s11, v4
	v_cmp_lt_i32_e32 vcc, -1, v4
	v_cmp_gt_i32_e64 s[0:1], s9, v4
	s_and_b64 s[16:17], vcc, s[0:1]
	s_and_saveexec_b64 s[0:1], s[16:17]
	s_cbranch_execz .LBB16_5
; %bb.7:                                ;   in Loop: Header=BB16_6 Depth=1
	s_add_i32 s14, s14, 1
	s_cmp_eq_u32 s10, s14
	s_cselect_b64 s[16:17], -1, 0
	s_andn2_b64 s[12:13], s[12:13], exec
	s_and_b64 s[16:17], s[16:17], exec
	v_add_u32_e32 v1, s8, v1
	v_mov_b32_e32 v2, s10
	s_or_b64 s[12:13], s[12:13], s[16:17]
	s_branch .LBB16_5
.LBB16_8:
	s_or_b64 exec, exec, s[4:5]
	s_branch .LBB16_10
.LBB16_9:
	v_mov_b32_e32 v2, 0
.LBB16_10:
	v_ashrrev_i32_e32 v1, 31, v0
	v_lshlrev_b64 v[0:1], 2, v[0:1]
	s_waitcnt lgkmcnt(0)
	v_mov_b32_e32 v3, s3
	v_add_co_u32_e32 v0, vcc, s2, v0
	v_addc_co_u32_e32 v1, vcc, v3, v1, vcc
	global_store_dword v[0:1], v2, off offset:4
.LBB16_11:
	s_endpgm
	.section	.rodata,"a",@progbits
	.p2align	6, 0x0
	.amdhsa_kernel _ZN9rocsparseL19ell2csr_nnz_per_rowILj256EiiEEvT1_S1_S1_PKS1_21rocsparse_index_base_PT0_S4_
		.amdhsa_group_segment_fixed_size 0
		.amdhsa_private_segment_fixed_size 0
		.amdhsa_kernarg_size 44
		.amdhsa_user_sgpr_count 6
		.amdhsa_user_sgpr_private_segment_buffer 1
		.amdhsa_user_sgpr_dispatch_ptr 0
		.amdhsa_user_sgpr_queue_ptr 0
		.amdhsa_user_sgpr_kernarg_segment_ptr 1
		.amdhsa_user_sgpr_dispatch_id 0
		.amdhsa_user_sgpr_flat_scratch_init 0
		.amdhsa_user_sgpr_private_segment_size 0
		.amdhsa_uses_dynamic_stack 0
		.amdhsa_system_sgpr_private_segment_wavefront_offset 0
		.amdhsa_system_sgpr_workgroup_id_x 1
		.amdhsa_system_sgpr_workgroup_id_y 0
		.amdhsa_system_sgpr_workgroup_id_z 0
		.amdhsa_system_sgpr_workgroup_info 0
		.amdhsa_system_vgpr_workitem_id 0
		.amdhsa_next_free_vgpr 6
		.amdhsa_next_free_sgpr 18
		.amdhsa_reserve_vcc 1
		.amdhsa_reserve_flat_scratch 0
		.amdhsa_float_round_mode_32 0
		.amdhsa_float_round_mode_16_64 0
		.amdhsa_float_denorm_mode_32 3
		.amdhsa_float_denorm_mode_16_64 3
		.amdhsa_dx10_clamp 1
		.amdhsa_ieee_mode 1
		.amdhsa_fp16_overflow 0
		.amdhsa_exception_fp_ieee_invalid_op 0
		.amdhsa_exception_fp_denorm_src 0
		.amdhsa_exception_fp_ieee_div_zero 0
		.amdhsa_exception_fp_ieee_overflow 0
		.amdhsa_exception_fp_ieee_underflow 0
		.amdhsa_exception_fp_ieee_inexact 0
		.amdhsa_exception_int_div_zero 0
	.end_amdhsa_kernel
	.section	.text._ZN9rocsparseL19ell2csr_nnz_per_rowILj256EiiEEvT1_S1_S1_PKS1_21rocsparse_index_base_PT0_S4_,"axG",@progbits,_ZN9rocsparseL19ell2csr_nnz_per_rowILj256EiiEEvT1_S1_S1_PKS1_21rocsparse_index_base_PT0_S4_,comdat
.Lfunc_end16:
	.size	_ZN9rocsparseL19ell2csr_nnz_per_rowILj256EiiEEvT1_S1_S1_PKS1_21rocsparse_index_base_PT0_S4_, .Lfunc_end16-_ZN9rocsparseL19ell2csr_nnz_per_rowILj256EiiEEvT1_S1_S1_PKS1_21rocsparse_index_base_PT0_S4_
                                        ; -- End function
	.set _ZN9rocsparseL19ell2csr_nnz_per_rowILj256EiiEEvT1_S1_S1_PKS1_21rocsparse_index_base_PT0_S4_.num_vgpr, 6
	.set _ZN9rocsparseL19ell2csr_nnz_per_rowILj256EiiEEvT1_S1_S1_PKS1_21rocsparse_index_base_PT0_S4_.num_agpr, 0
	.set _ZN9rocsparseL19ell2csr_nnz_per_rowILj256EiiEEvT1_S1_S1_PKS1_21rocsparse_index_base_PT0_S4_.numbered_sgpr, 18
	.set _ZN9rocsparseL19ell2csr_nnz_per_rowILj256EiiEEvT1_S1_S1_PKS1_21rocsparse_index_base_PT0_S4_.num_named_barrier, 0
	.set _ZN9rocsparseL19ell2csr_nnz_per_rowILj256EiiEEvT1_S1_S1_PKS1_21rocsparse_index_base_PT0_S4_.private_seg_size, 0
	.set _ZN9rocsparseL19ell2csr_nnz_per_rowILj256EiiEEvT1_S1_S1_PKS1_21rocsparse_index_base_PT0_S4_.uses_vcc, 1
	.set _ZN9rocsparseL19ell2csr_nnz_per_rowILj256EiiEEvT1_S1_S1_PKS1_21rocsparse_index_base_PT0_S4_.uses_flat_scratch, 0
	.set _ZN9rocsparseL19ell2csr_nnz_per_rowILj256EiiEEvT1_S1_S1_PKS1_21rocsparse_index_base_PT0_S4_.has_dyn_sized_stack, 0
	.set _ZN9rocsparseL19ell2csr_nnz_per_rowILj256EiiEEvT1_S1_S1_PKS1_21rocsparse_index_base_PT0_S4_.has_recursion, 0
	.set _ZN9rocsparseL19ell2csr_nnz_per_rowILj256EiiEEvT1_S1_S1_PKS1_21rocsparse_index_base_PT0_S4_.has_indirect_call, 0
	.section	.AMDGPU.csdata,"",@progbits
; Kernel info:
; codeLenInByte = 308
; TotalNumSgprs: 22
; NumVgprs: 6
; ScratchSize: 0
; MemoryBound: 0
; FloatMode: 240
; IeeeMode: 1
; LDSByteSize: 0 bytes/workgroup (compile time only)
; SGPRBlocks: 2
; VGPRBlocks: 1
; NumSGPRsForWavesPerEU: 22
; NumVGPRsForWavesPerEU: 6
; Occupancy: 10
; WaveLimiterHint : 0
; COMPUTE_PGM_RSRC2:SCRATCH_EN: 0
; COMPUTE_PGM_RSRC2:USER_SGPR: 6
; COMPUTE_PGM_RSRC2:TRAP_HANDLER: 0
; COMPUTE_PGM_RSRC2:TGID_X_EN: 1
; COMPUTE_PGM_RSRC2:TGID_Y_EN: 0
; COMPUTE_PGM_RSRC2:TGID_Z_EN: 0
; COMPUTE_PGM_RSRC2:TIDIG_COMP_CNT: 0
	.section	.text._ZN9rocsparseL18ell2csr_index_baseILj1EiEEvPT0_,"axG",@progbits,_ZN9rocsparseL18ell2csr_index_baseILj1EiEEvPT0_,comdat
	.globl	_ZN9rocsparseL18ell2csr_index_baseILj1EiEEvPT0_ ; -- Begin function _ZN9rocsparseL18ell2csr_index_baseILj1EiEEvPT0_
	.p2align	8
	.type	_ZN9rocsparseL18ell2csr_index_baseILj1EiEEvPT0_,@function
_ZN9rocsparseL18ell2csr_index_baseILj1EiEEvPT0_: ; @_ZN9rocsparseL18ell2csr_index_baseILj1EiEEvPT0_
; %bb.0:
	s_load_dwordx2 s[0:1], s[4:5], 0x0
	v_mov_b32_e32 v0, 0
	s_waitcnt lgkmcnt(0)
	s_load_dword s2, s[0:1], 0x0
	s_waitcnt lgkmcnt(0)
	s_add_i32 s2, s2, -1
	v_mov_b32_e32 v1, s2
	global_store_dword v0, v1, s[0:1]
	s_endpgm
	.section	.rodata,"a",@progbits
	.p2align	6, 0x0
	.amdhsa_kernel _ZN9rocsparseL18ell2csr_index_baseILj1EiEEvPT0_
		.amdhsa_group_segment_fixed_size 0
		.amdhsa_private_segment_fixed_size 0
		.amdhsa_kernarg_size 8
		.amdhsa_user_sgpr_count 6
		.amdhsa_user_sgpr_private_segment_buffer 1
		.amdhsa_user_sgpr_dispatch_ptr 0
		.amdhsa_user_sgpr_queue_ptr 0
		.amdhsa_user_sgpr_kernarg_segment_ptr 1
		.amdhsa_user_sgpr_dispatch_id 0
		.amdhsa_user_sgpr_flat_scratch_init 0
		.amdhsa_user_sgpr_private_segment_size 0
		.amdhsa_uses_dynamic_stack 0
		.amdhsa_system_sgpr_private_segment_wavefront_offset 0
		.amdhsa_system_sgpr_workgroup_id_x 1
		.amdhsa_system_sgpr_workgroup_id_y 0
		.amdhsa_system_sgpr_workgroup_id_z 0
		.amdhsa_system_sgpr_workgroup_info 0
		.amdhsa_system_vgpr_workitem_id 0
		.amdhsa_next_free_vgpr 2
		.amdhsa_next_free_sgpr 6
		.amdhsa_reserve_vcc 0
		.amdhsa_reserve_flat_scratch 0
		.amdhsa_float_round_mode_32 0
		.amdhsa_float_round_mode_16_64 0
		.amdhsa_float_denorm_mode_32 3
		.amdhsa_float_denorm_mode_16_64 3
		.amdhsa_dx10_clamp 1
		.amdhsa_ieee_mode 1
		.amdhsa_fp16_overflow 0
		.amdhsa_exception_fp_ieee_invalid_op 0
		.amdhsa_exception_fp_denorm_src 0
		.amdhsa_exception_fp_ieee_div_zero 0
		.amdhsa_exception_fp_ieee_overflow 0
		.amdhsa_exception_fp_ieee_underflow 0
		.amdhsa_exception_fp_ieee_inexact 0
		.amdhsa_exception_int_div_zero 0
	.end_amdhsa_kernel
	.section	.text._ZN9rocsparseL18ell2csr_index_baseILj1EiEEvPT0_,"axG",@progbits,_ZN9rocsparseL18ell2csr_index_baseILj1EiEEvPT0_,comdat
.Lfunc_end17:
	.size	_ZN9rocsparseL18ell2csr_index_baseILj1EiEEvPT0_, .Lfunc_end17-_ZN9rocsparseL18ell2csr_index_baseILj1EiEEvPT0_
                                        ; -- End function
	.set _ZN9rocsparseL18ell2csr_index_baseILj1EiEEvPT0_.num_vgpr, 2
	.set _ZN9rocsparseL18ell2csr_index_baseILj1EiEEvPT0_.num_agpr, 0
	.set _ZN9rocsparseL18ell2csr_index_baseILj1EiEEvPT0_.numbered_sgpr, 6
	.set _ZN9rocsparseL18ell2csr_index_baseILj1EiEEvPT0_.num_named_barrier, 0
	.set _ZN9rocsparseL18ell2csr_index_baseILj1EiEEvPT0_.private_seg_size, 0
	.set _ZN9rocsparseL18ell2csr_index_baseILj1EiEEvPT0_.uses_vcc, 0
	.set _ZN9rocsparseL18ell2csr_index_baseILj1EiEEvPT0_.uses_flat_scratch, 0
	.set _ZN9rocsparseL18ell2csr_index_baseILj1EiEEvPT0_.has_dyn_sized_stack, 0
	.set _ZN9rocsparseL18ell2csr_index_baseILj1EiEEvPT0_.has_recursion, 0
	.set _ZN9rocsparseL18ell2csr_index_baseILj1EiEEvPT0_.has_indirect_call, 0
	.section	.AMDGPU.csdata,"",@progbits
; Kernel info:
; codeLenInByte = 48
; TotalNumSgprs: 10
; NumVgprs: 2
; ScratchSize: 0
; MemoryBound: 0
; FloatMode: 240
; IeeeMode: 1
; LDSByteSize: 0 bytes/workgroup (compile time only)
; SGPRBlocks: 1
; VGPRBlocks: 0
; NumSGPRsForWavesPerEU: 10
; NumVGPRsForWavesPerEU: 2
; Occupancy: 10
; WaveLimiterHint : 0
; COMPUTE_PGM_RSRC2:SCRATCH_EN: 0
; COMPUTE_PGM_RSRC2:USER_SGPR: 6
; COMPUTE_PGM_RSRC2:TRAP_HANDLER: 0
; COMPUTE_PGM_RSRC2:TGID_X_EN: 1
; COMPUTE_PGM_RSRC2:TGID_Y_EN: 0
; COMPUTE_PGM_RSRC2:TGID_Z_EN: 0
; COMPUTE_PGM_RSRC2:TIDIG_COMP_CNT: 0
	.section	.text._ZN9rocsparseL19ell2csr_nnz_per_rowILj256EliEEvT1_S1_S1_PKS1_21rocsparse_index_base_PT0_S4_,"axG",@progbits,_ZN9rocsparseL19ell2csr_nnz_per_rowILj256EliEEvT1_S1_S1_PKS1_21rocsparse_index_base_PT0_S4_,comdat
	.globl	_ZN9rocsparseL19ell2csr_nnz_per_rowILj256EliEEvT1_S1_S1_PKS1_21rocsparse_index_base_PT0_S4_ ; -- Begin function _ZN9rocsparseL19ell2csr_nnz_per_rowILj256EliEEvT1_S1_S1_PKS1_21rocsparse_index_base_PT0_S4_
	.p2align	8
	.type	_ZN9rocsparseL19ell2csr_nnz_per_rowILj256EliEEvT1_S1_S1_PKS1_21rocsparse_index_base_PT0_S4_,@function
_ZN9rocsparseL19ell2csr_nnz_per_rowILj256EliEEvT1_S1_S1_PKS1_21rocsparse_index_base_PT0_S4_: ; @_ZN9rocsparseL19ell2csr_nnz_per_rowILj256EliEEvT1_S1_S1_PKS1_21rocsparse_index_base_PT0_S4_
; %bb.0:
	s_load_dwordx4 s[8:11], s[4:5], 0x0
	v_lshl_or_b32 v0, s6, 8, v0
	s_waitcnt lgkmcnt(0)
	v_cmp_gt_i32_e32 vcc, s8, v0
	s_and_saveexec_b64 s[0:1], vcc
	s_cbranch_execz .LBB18_11
; %bb.1:
	s_load_dwordx2 s[2:3], s[4:5], 0x20
	v_cmp_eq_u32_e32 vcc, 0, v0
	s_and_saveexec_b64 s[0:1], vcc
	s_cbranch_execz .LBB18_3
; %bb.2:
	s_load_dword s6, s[4:5], 0x28
	v_mov_b32_e32 v2, 0
	s_waitcnt lgkmcnt(0)
	v_mov_b32_e32 v1, s6
	global_store_dwordx2 v2, v[1:2], s[2:3]
.LBB18_3:
	s_or_b64 exec, exec, s[0:1]
	s_cmp_lt_i32 s10, 1
	s_cbranch_scc1 .LBB18_9
; %bb.4:
	s_load_dwordx2 s[6:7], s[4:5], 0x10
	s_load_dword s16, s[4:5], 0x18
	s_mov_b32 s11, 0
	s_mov_b64 s[4:5], 0
	v_mov_b32_e32 v1, v0
	s_waitcnt lgkmcnt(0)
	v_mov_b32_e32 v4, s7
	s_mov_b64 s[14:15], 0
                                        ; implicit-def: $sgpr12_sgpr13
	s_branch .LBB18_6
.LBB18_5:                               ;   in Loop: Header=BB18_6 Depth=1
	s_or_b64 exec, exec, s[0:1]
	s_and_b64 s[0:1], exec, s[12:13]
	s_or_b64 s[4:5], s[0:1], s[4:5]
	s_andn2_b64 exec, exec, s[4:5]
	s_cbranch_execz .LBB18_8
.LBB18_6:                               ; =>This Inner Loop Header: Depth=1
	v_ashrrev_i32_e32 v2, 31, v1
	v_lshlrev_b64 v[2:3], 2, v[1:2]
	s_or_b64 s[12:13], s[12:13], exec
	v_add_co_u32_e32 v2, vcc, s6, v2
	v_addc_co_u32_e32 v3, vcc, v4, v3, vcc
	global_load_dword v5, v[2:3], off
	v_mov_b32_e32 v2, s14
	v_mov_b32_e32 v3, s15
	s_waitcnt vmcnt(0)
	v_subrev_u32_e32 v5, s16, v5
	v_cmp_lt_i32_e32 vcc, -1, v5
	v_cmp_gt_i32_e64 s[0:1], s9, v5
	s_and_b64 s[18:19], vcc, s[0:1]
	s_and_saveexec_b64 s[0:1], s[18:19]
	s_cbranch_execz .LBB18_5
; %bb.7:                                ;   in Loop: Header=BB18_6 Depth=1
	s_add_u32 s14, s14, 1
	s_addc_u32 s15, s15, 0
	s_cmp_eq_u64 s[10:11], s[14:15]
	s_cselect_b64 s[18:19], -1, 0
	v_mov_b32_e32 v2, s10
	s_andn2_b64 s[12:13], s[12:13], exec
	s_and_b64 s[18:19], s[18:19], exec
	v_add_u32_e32 v1, s8, v1
	v_mov_b32_e32 v3, s11
	s_or_b64 s[12:13], s[12:13], s[18:19]
	s_branch .LBB18_5
.LBB18_8:
	s_or_b64 exec, exec, s[4:5]
	s_branch .LBB18_10
.LBB18_9:
	v_mov_b32_e32 v2, 0
	v_mov_b32_e32 v3, 0
.LBB18_10:
	v_ashrrev_i32_e32 v1, 31, v0
	v_lshlrev_b64 v[0:1], 3, v[0:1]
	s_waitcnt lgkmcnt(0)
	v_mov_b32_e32 v4, s3
	v_add_co_u32_e32 v0, vcc, s2, v0
	v_addc_co_u32_e32 v1, vcc, v4, v1, vcc
	global_store_dwordx2 v[0:1], v[2:3], off offset:8
.LBB18_11:
	s_endpgm
	.section	.rodata,"a",@progbits
	.p2align	6, 0x0
	.amdhsa_kernel _ZN9rocsparseL19ell2csr_nnz_per_rowILj256EliEEvT1_S1_S1_PKS1_21rocsparse_index_base_PT0_S4_
		.amdhsa_group_segment_fixed_size 0
		.amdhsa_private_segment_fixed_size 0
		.amdhsa_kernarg_size 44
		.amdhsa_user_sgpr_count 6
		.amdhsa_user_sgpr_private_segment_buffer 1
		.amdhsa_user_sgpr_dispatch_ptr 0
		.amdhsa_user_sgpr_queue_ptr 0
		.amdhsa_user_sgpr_kernarg_segment_ptr 1
		.amdhsa_user_sgpr_dispatch_id 0
		.amdhsa_user_sgpr_flat_scratch_init 0
		.amdhsa_user_sgpr_private_segment_size 0
		.amdhsa_uses_dynamic_stack 0
		.amdhsa_system_sgpr_private_segment_wavefront_offset 0
		.amdhsa_system_sgpr_workgroup_id_x 1
		.amdhsa_system_sgpr_workgroup_id_y 0
		.amdhsa_system_sgpr_workgroup_id_z 0
		.amdhsa_system_sgpr_workgroup_info 0
		.amdhsa_system_vgpr_workitem_id 0
		.amdhsa_next_free_vgpr 6
		.amdhsa_next_free_sgpr 20
		.amdhsa_reserve_vcc 1
		.amdhsa_reserve_flat_scratch 0
		.amdhsa_float_round_mode_32 0
		.amdhsa_float_round_mode_16_64 0
		.amdhsa_float_denorm_mode_32 3
		.amdhsa_float_denorm_mode_16_64 3
		.amdhsa_dx10_clamp 1
		.amdhsa_ieee_mode 1
		.amdhsa_fp16_overflow 0
		.amdhsa_exception_fp_ieee_invalid_op 0
		.amdhsa_exception_fp_denorm_src 0
		.amdhsa_exception_fp_ieee_div_zero 0
		.amdhsa_exception_fp_ieee_overflow 0
		.amdhsa_exception_fp_ieee_underflow 0
		.amdhsa_exception_fp_ieee_inexact 0
		.amdhsa_exception_int_div_zero 0
	.end_amdhsa_kernel
	.section	.text._ZN9rocsparseL19ell2csr_nnz_per_rowILj256EliEEvT1_S1_S1_PKS1_21rocsparse_index_base_PT0_S4_,"axG",@progbits,_ZN9rocsparseL19ell2csr_nnz_per_rowILj256EliEEvT1_S1_S1_PKS1_21rocsparse_index_base_PT0_S4_,comdat
.Lfunc_end18:
	.size	_ZN9rocsparseL19ell2csr_nnz_per_rowILj256EliEEvT1_S1_S1_PKS1_21rocsparse_index_base_PT0_S4_, .Lfunc_end18-_ZN9rocsparseL19ell2csr_nnz_per_rowILj256EliEEvT1_S1_S1_PKS1_21rocsparse_index_base_PT0_S4_
                                        ; -- End function
	.set _ZN9rocsparseL19ell2csr_nnz_per_rowILj256EliEEvT1_S1_S1_PKS1_21rocsparse_index_base_PT0_S4_.num_vgpr, 6
	.set _ZN9rocsparseL19ell2csr_nnz_per_rowILj256EliEEvT1_S1_S1_PKS1_21rocsparse_index_base_PT0_S4_.num_agpr, 0
	.set _ZN9rocsparseL19ell2csr_nnz_per_rowILj256EliEEvT1_S1_S1_PKS1_21rocsparse_index_base_PT0_S4_.numbered_sgpr, 20
	.set _ZN9rocsparseL19ell2csr_nnz_per_rowILj256EliEEvT1_S1_S1_PKS1_21rocsparse_index_base_PT0_S4_.num_named_barrier, 0
	.set _ZN9rocsparseL19ell2csr_nnz_per_rowILj256EliEEvT1_S1_S1_PKS1_21rocsparse_index_base_PT0_S4_.private_seg_size, 0
	.set _ZN9rocsparseL19ell2csr_nnz_per_rowILj256EliEEvT1_S1_S1_PKS1_21rocsparse_index_base_PT0_S4_.uses_vcc, 1
	.set _ZN9rocsparseL19ell2csr_nnz_per_rowILj256EliEEvT1_S1_S1_PKS1_21rocsparse_index_base_PT0_S4_.uses_flat_scratch, 0
	.set _ZN9rocsparseL19ell2csr_nnz_per_rowILj256EliEEvT1_S1_S1_PKS1_21rocsparse_index_base_PT0_S4_.has_dyn_sized_stack, 0
	.set _ZN9rocsparseL19ell2csr_nnz_per_rowILj256EliEEvT1_S1_S1_PKS1_21rocsparse_index_base_PT0_S4_.has_recursion, 0
	.set _ZN9rocsparseL19ell2csr_nnz_per_rowILj256EliEEvT1_S1_S1_PKS1_21rocsparse_index_base_PT0_S4_.has_indirect_call, 0
	.section	.AMDGPU.csdata,"",@progbits
; Kernel info:
; codeLenInByte = 328
; TotalNumSgprs: 24
; NumVgprs: 6
; ScratchSize: 0
; MemoryBound: 0
; FloatMode: 240
; IeeeMode: 1
; LDSByteSize: 0 bytes/workgroup (compile time only)
; SGPRBlocks: 2
; VGPRBlocks: 1
; NumSGPRsForWavesPerEU: 24
; NumVGPRsForWavesPerEU: 6
; Occupancy: 10
; WaveLimiterHint : 0
; COMPUTE_PGM_RSRC2:SCRATCH_EN: 0
; COMPUTE_PGM_RSRC2:USER_SGPR: 6
; COMPUTE_PGM_RSRC2:TRAP_HANDLER: 0
; COMPUTE_PGM_RSRC2:TGID_X_EN: 1
; COMPUTE_PGM_RSRC2:TGID_Y_EN: 0
; COMPUTE_PGM_RSRC2:TGID_Z_EN: 0
; COMPUTE_PGM_RSRC2:TIDIG_COMP_CNT: 0
	.section	.text._ZN9rocsparseL18ell2csr_index_baseILj1ElEEvPT0_,"axG",@progbits,_ZN9rocsparseL18ell2csr_index_baseILj1ElEEvPT0_,comdat
	.globl	_ZN9rocsparseL18ell2csr_index_baseILj1ElEEvPT0_ ; -- Begin function _ZN9rocsparseL18ell2csr_index_baseILj1ElEEvPT0_
	.p2align	8
	.type	_ZN9rocsparseL18ell2csr_index_baseILj1ElEEvPT0_,@function
_ZN9rocsparseL18ell2csr_index_baseILj1ElEEvPT0_: ; @_ZN9rocsparseL18ell2csr_index_baseILj1ElEEvPT0_
; %bb.0:
	s_load_dwordx2 s[0:1], s[4:5], 0x0
	v_mov_b32_e32 v2, 0
	s_waitcnt lgkmcnt(0)
	s_load_dwordx2 s[2:3], s[0:1], 0x0
	s_waitcnt lgkmcnt(0)
	s_add_u32 s2, s2, -1
	s_addc_u32 s3, s3, -1
	v_mov_b32_e32 v0, s2
	v_mov_b32_e32 v1, s3
	global_store_dwordx2 v2, v[0:1], s[0:1]
	s_endpgm
	.section	.rodata,"a",@progbits
	.p2align	6, 0x0
	.amdhsa_kernel _ZN9rocsparseL18ell2csr_index_baseILj1ElEEvPT0_
		.amdhsa_group_segment_fixed_size 0
		.amdhsa_private_segment_fixed_size 0
		.amdhsa_kernarg_size 8
		.amdhsa_user_sgpr_count 6
		.amdhsa_user_sgpr_private_segment_buffer 1
		.amdhsa_user_sgpr_dispatch_ptr 0
		.amdhsa_user_sgpr_queue_ptr 0
		.amdhsa_user_sgpr_kernarg_segment_ptr 1
		.amdhsa_user_sgpr_dispatch_id 0
		.amdhsa_user_sgpr_flat_scratch_init 0
		.amdhsa_user_sgpr_private_segment_size 0
		.amdhsa_uses_dynamic_stack 0
		.amdhsa_system_sgpr_private_segment_wavefront_offset 0
		.amdhsa_system_sgpr_workgroup_id_x 1
		.amdhsa_system_sgpr_workgroup_id_y 0
		.amdhsa_system_sgpr_workgroup_id_z 0
		.amdhsa_system_sgpr_workgroup_info 0
		.amdhsa_system_vgpr_workitem_id 0
		.amdhsa_next_free_vgpr 3
		.amdhsa_next_free_sgpr 6
		.amdhsa_reserve_vcc 0
		.amdhsa_reserve_flat_scratch 0
		.amdhsa_float_round_mode_32 0
		.amdhsa_float_round_mode_16_64 0
		.amdhsa_float_denorm_mode_32 3
		.amdhsa_float_denorm_mode_16_64 3
		.amdhsa_dx10_clamp 1
		.amdhsa_ieee_mode 1
		.amdhsa_fp16_overflow 0
		.amdhsa_exception_fp_ieee_invalid_op 0
		.amdhsa_exception_fp_denorm_src 0
		.amdhsa_exception_fp_ieee_div_zero 0
		.amdhsa_exception_fp_ieee_overflow 0
		.amdhsa_exception_fp_ieee_underflow 0
		.amdhsa_exception_fp_ieee_inexact 0
		.amdhsa_exception_int_div_zero 0
	.end_amdhsa_kernel
	.section	.text._ZN9rocsparseL18ell2csr_index_baseILj1ElEEvPT0_,"axG",@progbits,_ZN9rocsparseL18ell2csr_index_baseILj1ElEEvPT0_,comdat
.Lfunc_end19:
	.size	_ZN9rocsparseL18ell2csr_index_baseILj1ElEEvPT0_, .Lfunc_end19-_ZN9rocsparseL18ell2csr_index_baseILj1ElEEvPT0_
                                        ; -- End function
	.set _ZN9rocsparseL18ell2csr_index_baseILj1ElEEvPT0_.num_vgpr, 3
	.set _ZN9rocsparseL18ell2csr_index_baseILj1ElEEvPT0_.num_agpr, 0
	.set _ZN9rocsparseL18ell2csr_index_baseILj1ElEEvPT0_.numbered_sgpr, 6
	.set _ZN9rocsparseL18ell2csr_index_baseILj1ElEEvPT0_.num_named_barrier, 0
	.set _ZN9rocsparseL18ell2csr_index_baseILj1ElEEvPT0_.private_seg_size, 0
	.set _ZN9rocsparseL18ell2csr_index_baseILj1ElEEvPT0_.uses_vcc, 0
	.set _ZN9rocsparseL18ell2csr_index_baseILj1ElEEvPT0_.uses_flat_scratch, 0
	.set _ZN9rocsparseL18ell2csr_index_baseILj1ElEEvPT0_.has_dyn_sized_stack, 0
	.set _ZN9rocsparseL18ell2csr_index_baseILj1ElEEvPT0_.has_recursion, 0
	.set _ZN9rocsparseL18ell2csr_index_baseILj1ElEEvPT0_.has_indirect_call, 0
	.section	.AMDGPU.csdata,"",@progbits
; Kernel info:
; codeLenInByte = 56
; TotalNumSgprs: 10
; NumVgprs: 3
; ScratchSize: 0
; MemoryBound: 1
; FloatMode: 240
; IeeeMode: 1
; LDSByteSize: 0 bytes/workgroup (compile time only)
; SGPRBlocks: 1
; VGPRBlocks: 0
; NumSGPRsForWavesPerEU: 10
; NumVGPRsForWavesPerEU: 3
; Occupancy: 10
; WaveLimiterHint : 1
; COMPUTE_PGM_RSRC2:SCRATCH_EN: 0
; COMPUTE_PGM_RSRC2:USER_SGPR: 6
; COMPUTE_PGM_RSRC2:TRAP_HANDLER: 0
; COMPUTE_PGM_RSRC2:TGID_X_EN: 1
; COMPUTE_PGM_RSRC2:TGID_Y_EN: 0
; COMPUTE_PGM_RSRC2:TGID_Z_EN: 0
; COMPUTE_PGM_RSRC2:TIDIG_COMP_CNT: 0
	.section	.text._ZN9rocsparseL19ell2csr_nnz_per_rowILj256EilEEvT1_S1_S1_PKS1_21rocsparse_index_base_PT0_S4_,"axG",@progbits,_ZN9rocsparseL19ell2csr_nnz_per_rowILj256EilEEvT1_S1_S1_PKS1_21rocsparse_index_base_PT0_S4_,comdat
	.globl	_ZN9rocsparseL19ell2csr_nnz_per_rowILj256EilEEvT1_S1_S1_PKS1_21rocsparse_index_base_PT0_S4_ ; -- Begin function _ZN9rocsparseL19ell2csr_nnz_per_rowILj256EilEEvT1_S1_S1_PKS1_21rocsparse_index_base_PT0_S4_
	.p2align	8
	.type	_ZN9rocsparseL19ell2csr_nnz_per_rowILj256EilEEvT1_S1_S1_PKS1_21rocsparse_index_base_PT0_S4_,@function
_ZN9rocsparseL19ell2csr_nnz_per_rowILj256EilEEvT1_S1_S1_PKS1_21rocsparse_index_base_PT0_S4_: ; @_ZN9rocsparseL19ell2csr_nnz_per_rowILj256EilEEvT1_S1_S1_PKS1_21rocsparse_index_base_PT0_S4_
; %bb.0:
	s_load_dwordx4 s[0:3], s[4:5], 0x0
	s_mov_b32 s7, 0
	s_lshl_b64 s[8:9], s[6:7], 8
	v_or_b32_e32 v1, s8, v0
	v_mov_b32_e32 v2, s9
	s_waitcnt lgkmcnt(0)
	v_cmp_gt_i64_e32 vcc, s[0:1], v[1:2]
	s_and_saveexec_b64 s[8:9], vcc
	s_cbranch_execz .LBB20_11
; %bb.1:
	s_load_dwordx2 s[10:11], s[4:5], 0x10
	s_load_dwordx2 s[8:9], s[4:5], 0x28
	v_cmp_eq_u64_e32 vcc, 0, v[1:2]
	s_and_saveexec_b64 s[12:13], vcc
	s_cbranch_execz .LBB20_3
; %bb.2:
	s_load_dword s1, s[4:5], 0x30
	v_mov_b32_e32 v3, 0
	s_waitcnt lgkmcnt(0)
	v_mov_b32_e32 v4, s1
	global_store_dword v3, v4, s[8:9]
.LBB20_3:
	s_or_b64 exec, exec, s[12:13]
	s_waitcnt lgkmcnt(0)
	v_cmp_lt_i64_e64 s[12:13], s[10:11], 1
	s_and_b64 vcc, exec, s[12:13]
	s_cbranch_vccnz .LBB20_9
; %bb.4:
	s_load_dwordx2 s[12:13], s[4:5], 0x18
	s_load_dword s16, s[4:5], 0x20
	s_lshl_b32 s1, s6, 8
	v_or_b32_e32 v4, s1, v0
	v_mov_b32_e32 v3, 0
	s_mov_b32 s17, s0
	s_mov_b64 s[4:5], 0
	s_waitcnt lgkmcnt(0)
	v_mov_b32_e32 v0, s13
	s_mov_b64 s[14:15], 0
                                        ; implicit-def: $sgpr6_sgpr7
	s_branch .LBB20_6
.LBB20_5:                               ;   in Loop: Header=BB20_6 Depth=1
	s_or_b64 exec, exec, s[0:1]
	s_and_b64 s[0:1], exec, s[6:7]
	s_or_b64 s[4:5], s[0:1], s[4:5]
	s_andn2_b64 exec, exec, s[4:5]
	s_cbranch_execz .LBB20_8
.LBB20_6:                               ; =>This Inner Loop Header: Depth=1
	v_ashrrev_i64 v[5:6], 29, v[3:4]
	s_or_b64 s[6:7], s[6:7], exec
	v_add_co_u32_e32 v5, vcc, s12, v5
	v_addc_co_u32_e32 v6, vcc, v0, v6, vcc
	global_load_dwordx2 v[5:6], v[5:6], off
	s_waitcnt vmcnt(0)
	v_subrev_co_u32_e32 v5, vcc, s16, v5
	v_subbrev_co_u32_e32 v6, vcc, 0, v6, vcc
	v_cmp_lt_i64_e32 vcc, -1, v[5:6]
	v_cmp_gt_i64_e64 s[0:1], s[2:3], v[5:6]
	v_mov_b32_e32 v5, s14
	s_and_b64 s[18:19], vcc, s[0:1]
	v_mov_b32_e32 v6, s15
	s_and_saveexec_b64 s[0:1], s[18:19]
	s_cbranch_execz .LBB20_5
; %bb.7:                                ;   in Loop: Header=BB20_6 Depth=1
	s_add_u32 s14, s14, 1
	v_mov_b32_e32 v5, s17
	v_add_co_u32_e32 v3, vcc, 0, v3
	s_addc_u32 s15, s15, 0
	v_addc_co_u32_e32 v4, vcc, v4, v5, vcc
	v_mov_b32_e32 v5, s14
	v_mov_b32_e32 v6, s15
	v_cmp_le_i64_e32 vcc, s[10:11], v[5:6]
	s_andn2_b64 s[6:7], s[6:7], exec
	s_and_b64 s[18:19], vcc, exec
	v_mov_b32_e32 v5, s10
	s_or_b64 s[6:7], s[6:7], s[18:19]
	v_mov_b32_e32 v6, s11
	s_branch .LBB20_5
.LBB20_8:
	s_or_b64 exec, exec, s[4:5]
	s_branch .LBB20_10
.LBB20_9:
	v_mov_b32_e32 v5, 0
.LBB20_10:
	v_lshlrev_b64 v[0:1], 2, v[1:2]
	v_mov_b32_e32 v2, s9
	v_add_co_u32_e32 v0, vcc, s8, v0
	v_addc_co_u32_e32 v1, vcc, v2, v1, vcc
	global_store_dword v[0:1], v5, off offset:4
.LBB20_11:
	s_endpgm
	.section	.rodata,"a",@progbits
	.p2align	6, 0x0
	.amdhsa_kernel _ZN9rocsparseL19ell2csr_nnz_per_rowILj256EilEEvT1_S1_S1_PKS1_21rocsparse_index_base_PT0_S4_
		.amdhsa_group_segment_fixed_size 0
		.amdhsa_private_segment_fixed_size 0
		.amdhsa_kernarg_size 52
		.amdhsa_user_sgpr_count 6
		.amdhsa_user_sgpr_private_segment_buffer 1
		.amdhsa_user_sgpr_dispatch_ptr 0
		.amdhsa_user_sgpr_queue_ptr 0
		.amdhsa_user_sgpr_kernarg_segment_ptr 1
		.amdhsa_user_sgpr_dispatch_id 0
		.amdhsa_user_sgpr_flat_scratch_init 0
		.amdhsa_user_sgpr_private_segment_size 0
		.amdhsa_uses_dynamic_stack 0
		.amdhsa_system_sgpr_private_segment_wavefront_offset 0
		.amdhsa_system_sgpr_workgroup_id_x 1
		.amdhsa_system_sgpr_workgroup_id_y 0
		.amdhsa_system_sgpr_workgroup_id_z 0
		.amdhsa_system_sgpr_workgroup_info 0
		.amdhsa_system_vgpr_workitem_id 0
		.amdhsa_next_free_vgpr 7
		.amdhsa_next_free_sgpr 20
		.amdhsa_reserve_vcc 1
		.amdhsa_reserve_flat_scratch 0
		.amdhsa_float_round_mode_32 0
		.amdhsa_float_round_mode_16_64 0
		.amdhsa_float_denorm_mode_32 3
		.amdhsa_float_denorm_mode_16_64 3
		.amdhsa_dx10_clamp 1
		.amdhsa_ieee_mode 1
		.amdhsa_fp16_overflow 0
		.amdhsa_exception_fp_ieee_invalid_op 0
		.amdhsa_exception_fp_denorm_src 0
		.amdhsa_exception_fp_ieee_div_zero 0
		.amdhsa_exception_fp_ieee_overflow 0
		.amdhsa_exception_fp_ieee_underflow 0
		.amdhsa_exception_fp_ieee_inexact 0
		.amdhsa_exception_int_div_zero 0
	.end_amdhsa_kernel
	.section	.text._ZN9rocsparseL19ell2csr_nnz_per_rowILj256EilEEvT1_S1_S1_PKS1_21rocsparse_index_base_PT0_S4_,"axG",@progbits,_ZN9rocsparseL19ell2csr_nnz_per_rowILj256EilEEvT1_S1_S1_PKS1_21rocsparse_index_base_PT0_S4_,comdat
.Lfunc_end20:
	.size	_ZN9rocsparseL19ell2csr_nnz_per_rowILj256EilEEvT1_S1_S1_PKS1_21rocsparse_index_base_PT0_S4_, .Lfunc_end20-_ZN9rocsparseL19ell2csr_nnz_per_rowILj256EilEEvT1_S1_S1_PKS1_21rocsparse_index_base_PT0_S4_
                                        ; -- End function
	.set _ZN9rocsparseL19ell2csr_nnz_per_rowILj256EilEEvT1_S1_S1_PKS1_21rocsparse_index_base_PT0_S4_.num_vgpr, 7
	.set _ZN9rocsparseL19ell2csr_nnz_per_rowILj256EilEEvT1_S1_S1_PKS1_21rocsparse_index_base_PT0_S4_.num_agpr, 0
	.set _ZN9rocsparseL19ell2csr_nnz_per_rowILj256EilEEvT1_S1_S1_PKS1_21rocsparse_index_base_PT0_S4_.numbered_sgpr, 20
	.set _ZN9rocsparseL19ell2csr_nnz_per_rowILj256EilEEvT1_S1_S1_PKS1_21rocsparse_index_base_PT0_S4_.num_named_barrier, 0
	.set _ZN9rocsparseL19ell2csr_nnz_per_rowILj256EilEEvT1_S1_S1_PKS1_21rocsparse_index_base_PT0_S4_.private_seg_size, 0
	.set _ZN9rocsparseL19ell2csr_nnz_per_rowILj256EilEEvT1_S1_S1_PKS1_21rocsparse_index_base_PT0_S4_.uses_vcc, 1
	.set _ZN9rocsparseL19ell2csr_nnz_per_rowILj256EilEEvT1_S1_S1_PKS1_21rocsparse_index_base_PT0_S4_.uses_flat_scratch, 0
	.set _ZN9rocsparseL19ell2csr_nnz_per_rowILj256EilEEvT1_S1_S1_PKS1_21rocsparse_index_base_PT0_S4_.has_dyn_sized_stack, 0
	.set _ZN9rocsparseL19ell2csr_nnz_per_rowILj256EilEEvT1_S1_S1_PKS1_21rocsparse_index_base_PT0_S4_.has_recursion, 0
	.set _ZN9rocsparseL19ell2csr_nnz_per_rowILj256EilEEvT1_S1_S1_PKS1_21rocsparse_index_base_PT0_S4_.has_indirect_call, 0
	.section	.AMDGPU.csdata,"",@progbits
; Kernel info:
; codeLenInByte = 364
; TotalNumSgprs: 24
; NumVgprs: 7
; ScratchSize: 0
; MemoryBound: 0
; FloatMode: 240
; IeeeMode: 1
; LDSByteSize: 0 bytes/workgroup (compile time only)
; SGPRBlocks: 2
; VGPRBlocks: 1
; NumSGPRsForWavesPerEU: 24
; NumVGPRsForWavesPerEU: 7
; Occupancy: 10
; WaveLimiterHint : 0
; COMPUTE_PGM_RSRC2:SCRATCH_EN: 0
; COMPUTE_PGM_RSRC2:USER_SGPR: 6
; COMPUTE_PGM_RSRC2:TRAP_HANDLER: 0
; COMPUTE_PGM_RSRC2:TGID_X_EN: 1
; COMPUTE_PGM_RSRC2:TGID_Y_EN: 0
; COMPUTE_PGM_RSRC2:TGID_Z_EN: 0
; COMPUTE_PGM_RSRC2:TIDIG_COMP_CNT: 0
	.section	.text._ZN9rocsparseL19ell2csr_nnz_per_rowILj256EllEEvT1_S1_S1_PKS1_21rocsparse_index_base_PT0_S4_,"axG",@progbits,_ZN9rocsparseL19ell2csr_nnz_per_rowILj256EllEEvT1_S1_S1_PKS1_21rocsparse_index_base_PT0_S4_,comdat
	.globl	_ZN9rocsparseL19ell2csr_nnz_per_rowILj256EllEEvT1_S1_S1_PKS1_21rocsparse_index_base_PT0_S4_ ; -- Begin function _ZN9rocsparseL19ell2csr_nnz_per_rowILj256EllEEvT1_S1_S1_PKS1_21rocsparse_index_base_PT0_S4_
	.p2align	8
	.type	_ZN9rocsparseL19ell2csr_nnz_per_rowILj256EllEEvT1_S1_S1_PKS1_21rocsparse_index_base_PT0_S4_,@function
_ZN9rocsparseL19ell2csr_nnz_per_rowILj256EllEEvT1_S1_S1_PKS1_21rocsparse_index_base_PT0_S4_: ; @_ZN9rocsparseL19ell2csr_nnz_per_rowILj256EllEEvT1_S1_S1_PKS1_21rocsparse_index_base_PT0_S4_
; %bb.0:
	s_load_dwordx4 s[0:3], s[4:5], 0x0
	s_mov_b32 s7, 0
	s_lshl_b64 s[6:7], s[6:7], 8
	v_or_b32_e32 v0, s6, v0
	v_mov_b32_e32 v1, s7
	s_waitcnt lgkmcnt(0)
	v_cmp_gt_i64_e32 vcc, s[0:1], v[0:1]
	s_and_saveexec_b64 s[6:7], vcc
	s_cbranch_execz .LBB21_11
; %bb.1:
	s_load_dwordx2 s[8:9], s[4:5], 0x10
	s_load_dwordx2 s[6:7], s[4:5], 0x28
	v_cmp_eq_u64_e32 vcc, 0, v[0:1]
	s_and_saveexec_b64 s[10:11], vcc
	s_cbranch_execz .LBB21_3
; %bb.2:
	s_load_dword s12, s[4:5], 0x30
	v_mov_b32_e32 v3, 0
	s_waitcnt lgkmcnt(0)
	v_mov_b32_e32 v2, s12
	global_store_dwordx2 v3, v[2:3], s[6:7]
.LBB21_3:
	s_or_b64 exec, exec, s[10:11]
	s_waitcnt lgkmcnt(0)
	v_cmp_lt_i64_e64 s[10:11], s[8:9], 1
	v_lshlrev_b64 v[0:1], 3, v[0:1]
	s_and_b64 vcc, exec, s[10:11]
	s_cbranch_vccnz .LBB21_9
; %bb.4:
	s_load_dwordx2 s[10:11], s[4:5], 0x18
	s_load_dword s16, s[4:5], 0x20
	s_mov_b64 s[4:5], 0
	s_mov_b64 s[14:15], 0
                                        ; implicit-def: $sgpr12_sgpr13
	s_waitcnt lgkmcnt(0)
	v_mov_b32_e32 v3, s11
	v_add_co_u32_e32 v2, vcc, s10, v0
	v_addc_co_u32_e32 v3, vcc, v3, v1, vcc
	s_lshl_b64 s[10:11], s[0:1], 3
	s_branch .LBB21_6
.LBB21_5:                               ;   in Loop: Header=BB21_6 Depth=1
	s_or_b64 exec, exec, s[0:1]
	s_and_b64 s[0:1], exec, s[12:13]
	s_or_b64 s[4:5], s[0:1], s[4:5]
	s_andn2_b64 exec, exec, s[4:5]
	s_cbranch_execz .LBB21_8
.LBB21_6:                               ; =>This Inner Loop Header: Depth=1
	global_load_dwordx2 v[4:5], v[2:3], off
	s_or_b64 s[12:13], s[12:13], exec
	s_waitcnt vmcnt(0)
	v_subrev_co_u32_e32 v4, vcc, s16, v4
	v_subbrev_co_u32_e32 v5, vcc, 0, v5, vcc
	v_cmp_lt_i64_e32 vcc, -1, v[4:5]
	v_cmp_gt_i64_e64 s[0:1], s[2:3], v[4:5]
	v_mov_b32_e32 v4, s14
	v_mov_b32_e32 v5, s15
	s_and_b64 s[18:19], vcc, s[0:1]
	s_and_saveexec_b64 s[0:1], s[18:19]
	s_cbranch_execz .LBB21_5
; %bb.7:                                ;   in Loop: Header=BB21_6 Depth=1
	s_add_u32 s14, s14, 1
	s_addc_u32 s15, s15, 0
	s_cmp_eq_u64 s[8:9], s[14:15]
	v_mov_b32_e32 v4, s11
	v_add_co_u32_e32 v2, vcc, s10, v2
	s_cselect_b64 s[18:19], -1, 0
	v_addc_co_u32_e32 v3, vcc, v3, v4, vcc
	v_mov_b32_e32 v4, s8
	s_andn2_b64 s[12:13], s[12:13], exec
	s_and_b64 s[18:19], s[18:19], exec
	v_mov_b32_e32 v5, s9
	s_or_b64 s[12:13], s[12:13], s[18:19]
	s_branch .LBB21_5
.LBB21_8:
	s_or_b64 exec, exec, s[4:5]
	s_branch .LBB21_10
.LBB21_9:
	v_mov_b32_e32 v4, 0
	v_mov_b32_e32 v5, 0
.LBB21_10:
	v_mov_b32_e32 v2, s7
	v_add_co_u32_e32 v0, vcc, s6, v0
	v_addc_co_u32_e32 v1, vcc, v2, v1, vcc
	global_store_dwordx2 v[0:1], v[4:5], off offset:8
.LBB21_11:
	s_endpgm
	.section	.rodata,"a",@progbits
	.p2align	6, 0x0
	.amdhsa_kernel _ZN9rocsparseL19ell2csr_nnz_per_rowILj256EllEEvT1_S1_S1_PKS1_21rocsparse_index_base_PT0_S4_
		.amdhsa_group_segment_fixed_size 0
		.amdhsa_private_segment_fixed_size 0
		.amdhsa_kernarg_size 52
		.amdhsa_user_sgpr_count 6
		.amdhsa_user_sgpr_private_segment_buffer 1
		.amdhsa_user_sgpr_dispatch_ptr 0
		.amdhsa_user_sgpr_queue_ptr 0
		.amdhsa_user_sgpr_kernarg_segment_ptr 1
		.amdhsa_user_sgpr_dispatch_id 0
		.amdhsa_user_sgpr_flat_scratch_init 0
		.amdhsa_user_sgpr_private_segment_size 0
		.amdhsa_uses_dynamic_stack 0
		.amdhsa_system_sgpr_private_segment_wavefront_offset 0
		.amdhsa_system_sgpr_workgroup_id_x 1
		.amdhsa_system_sgpr_workgroup_id_y 0
		.amdhsa_system_sgpr_workgroup_id_z 0
		.amdhsa_system_sgpr_workgroup_info 0
		.amdhsa_system_vgpr_workitem_id 0
		.amdhsa_next_free_vgpr 6
		.amdhsa_next_free_sgpr 20
		.amdhsa_reserve_vcc 1
		.amdhsa_reserve_flat_scratch 0
		.amdhsa_float_round_mode_32 0
		.amdhsa_float_round_mode_16_64 0
		.amdhsa_float_denorm_mode_32 3
		.amdhsa_float_denorm_mode_16_64 3
		.amdhsa_dx10_clamp 1
		.amdhsa_ieee_mode 1
		.amdhsa_fp16_overflow 0
		.amdhsa_exception_fp_ieee_invalid_op 0
		.amdhsa_exception_fp_denorm_src 0
		.amdhsa_exception_fp_ieee_div_zero 0
		.amdhsa_exception_fp_ieee_overflow 0
		.amdhsa_exception_fp_ieee_underflow 0
		.amdhsa_exception_fp_ieee_inexact 0
		.amdhsa_exception_int_div_zero 0
	.end_amdhsa_kernel
	.section	.text._ZN9rocsparseL19ell2csr_nnz_per_rowILj256EllEEvT1_S1_S1_PKS1_21rocsparse_index_base_PT0_S4_,"axG",@progbits,_ZN9rocsparseL19ell2csr_nnz_per_rowILj256EllEEvT1_S1_S1_PKS1_21rocsparse_index_base_PT0_S4_,comdat
.Lfunc_end21:
	.size	_ZN9rocsparseL19ell2csr_nnz_per_rowILj256EllEEvT1_S1_S1_PKS1_21rocsparse_index_base_PT0_S4_, .Lfunc_end21-_ZN9rocsparseL19ell2csr_nnz_per_rowILj256EllEEvT1_S1_S1_PKS1_21rocsparse_index_base_PT0_S4_
                                        ; -- End function
	.set _ZN9rocsparseL19ell2csr_nnz_per_rowILj256EllEEvT1_S1_S1_PKS1_21rocsparse_index_base_PT0_S4_.num_vgpr, 6
	.set _ZN9rocsparseL19ell2csr_nnz_per_rowILj256EllEEvT1_S1_S1_PKS1_21rocsparse_index_base_PT0_S4_.num_agpr, 0
	.set _ZN9rocsparseL19ell2csr_nnz_per_rowILj256EllEEvT1_S1_S1_PKS1_21rocsparse_index_base_PT0_S4_.numbered_sgpr, 20
	.set _ZN9rocsparseL19ell2csr_nnz_per_rowILj256EllEEvT1_S1_S1_PKS1_21rocsparse_index_base_PT0_S4_.num_named_barrier, 0
	.set _ZN9rocsparseL19ell2csr_nnz_per_rowILj256EllEEvT1_S1_S1_PKS1_21rocsparse_index_base_PT0_S4_.private_seg_size, 0
	.set _ZN9rocsparseL19ell2csr_nnz_per_rowILj256EllEEvT1_S1_S1_PKS1_21rocsparse_index_base_PT0_S4_.uses_vcc, 1
	.set _ZN9rocsparseL19ell2csr_nnz_per_rowILj256EllEEvT1_S1_S1_PKS1_21rocsparse_index_base_PT0_S4_.uses_flat_scratch, 0
	.set _ZN9rocsparseL19ell2csr_nnz_per_rowILj256EllEEvT1_S1_S1_PKS1_21rocsparse_index_base_PT0_S4_.has_dyn_sized_stack, 0
	.set _ZN9rocsparseL19ell2csr_nnz_per_rowILj256EllEEvT1_S1_S1_PKS1_21rocsparse_index_base_PT0_S4_.has_recursion, 0
	.set _ZN9rocsparseL19ell2csr_nnz_per_rowILj256EllEEvT1_S1_S1_PKS1_21rocsparse_index_base_PT0_S4_.has_indirect_call, 0
	.section	.AMDGPU.csdata,"",@progbits
; Kernel info:
; codeLenInByte = 344
; TotalNumSgprs: 24
; NumVgprs: 6
; ScratchSize: 0
; MemoryBound: 0
; FloatMode: 240
; IeeeMode: 1
; LDSByteSize: 0 bytes/workgroup (compile time only)
; SGPRBlocks: 2
; VGPRBlocks: 1
; NumSGPRsForWavesPerEU: 24
; NumVGPRsForWavesPerEU: 6
; Occupancy: 10
; WaveLimiterHint : 0
; COMPUTE_PGM_RSRC2:SCRATCH_EN: 0
; COMPUTE_PGM_RSRC2:USER_SGPR: 6
; COMPUTE_PGM_RSRC2:TRAP_HANDLER: 0
; COMPUTE_PGM_RSRC2:TGID_X_EN: 1
; COMPUTE_PGM_RSRC2:TGID_Y_EN: 0
; COMPUTE_PGM_RSRC2:TGID_Z_EN: 0
; COMPUTE_PGM_RSRC2:TIDIG_COMP_CNT: 0
	.section	.AMDGPU.gpr_maximums,"",@progbits
	.set amdgpu.max_num_vgpr, 0
	.set amdgpu.max_num_agpr, 0
	.set amdgpu.max_num_sgpr, 0
	.section	.AMDGPU.csdata,"",@progbits
	.type	__hip_cuid_16ad9db36657fb10,@object ; @__hip_cuid_16ad9db36657fb10
	.section	.bss,"aw",@nobits
	.globl	__hip_cuid_16ad9db36657fb10
__hip_cuid_16ad9db36657fb10:
	.byte	0                               ; 0x0
	.size	__hip_cuid_16ad9db36657fb10, 1

	.ident	"AMD clang version 22.0.0git (https://github.com/RadeonOpenCompute/llvm-project roc-7.2.4 26084 f58b06dce1f9c15707c5f808fd002e18c2accf7e)"
	.section	".note.GNU-stack","",@progbits
	.addrsig
	.addrsig_sym __hip_cuid_16ad9db36657fb10
	.amdgpu_metadata
---
amdhsa.kernels:
  - .args:
      - .offset:         0
        .size:           4
        .value_kind:     by_value
      - .offset:         4
        .size:           4
        .value_kind:     by_value
      - .offset:         8
        .size:           4
        .value_kind:     by_value
      - .actual_access:  read_only
        .address_space:  global
        .offset:         16
        .size:           8
        .value_kind:     global_buffer
      - .actual_access:  read_only
        .address_space:  global
        .offset:         24
        .size:           8
        .value_kind:     global_buffer
      - .offset:         32
        .size:           4
        .value_kind:     by_value
      - .actual_access:  read_only
        .address_space:  global
        .offset:         40
        .size:           8
        .value_kind:     global_buffer
      - .actual_access:  write_only
        .address_space:  global
        .offset:         48
        .size:           8
        .value_kind:     global_buffer
      - .actual_access:  write_only
        .address_space:  global
        .offset:         56
        .size:           8
        .value_kind:     global_buffer
      - .offset:         64
        .size:           4
        .value_kind:     by_value
    .group_segment_fixed_size: 0
    .kernarg_segment_align: 8
    .kernarg_segment_size: 68
    .language:       OpenCL C
    .language_version:
      - 2
      - 0
    .max_flat_workgroup_size: 256
    .name:           _ZN9rocsparseL12ell2csr_fillILj256EfiiEEvT2_S1_S1_PKS1_PKT0_21rocsparse_index_base_PKT1_PS1_PS4_S7_
    .private_segment_fixed_size: 0
    .sgpr_count:     24
    .sgpr_spill_count: 0
    .symbol:         _ZN9rocsparseL12ell2csr_fillILj256EfiiEEvT2_S1_S1_PKS1_PKT0_21rocsparse_index_base_PKT1_PS1_PS4_S7_.kd
    .uniform_work_group_size: 1
    .uses_dynamic_stack: false
    .vgpr_count:     11
    .vgpr_spill_count: 0
    .wavefront_size: 64
  - .args:
      - .offset:         0
        .size:           4
        .value_kind:     by_value
      - .offset:         4
        .size:           4
        .value_kind:     by_value
      - .offset:         8
        .size:           4
        .value_kind:     by_value
      - .actual_access:  read_only
        .address_space:  global
        .offset:         16
        .size:           8
        .value_kind:     global_buffer
      - .actual_access:  read_only
        .address_space:  global
        .offset:         24
        .size:           8
        .value_kind:     global_buffer
      - .offset:         32
        .size:           4
        .value_kind:     by_value
      - .actual_access:  read_only
        .address_space:  global
        .offset:         40
        .size:           8
        .value_kind:     global_buffer
      - .actual_access:  write_only
        .address_space:  global
        .offset:         48
        .size:           8
        .value_kind:     global_buffer
      - .actual_access:  write_only
        .address_space:  global
        .offset:         56
        .size:           8
        .value_kind:     global_buffer
      - .offset:         64
        .size:           4
        .value_kind:     by_value
    .group_segment_fixed_size: 0
    .kernarg_segment_align: 8
    .kernarg_segment_size: 68
    .language:       OpenCL C
    .language_version:
      - 2
      - 0
    .max_flat_workgroup_size: 256
    .name:           _ZN9rocsparseL12ell2csr_fillILj256E21rocsparse_complex_numIfEiiEEvT2_S3_S3_PKS3_PKT0_21rocsparse_index_base_PKT1_PS3_PS6_S9_
    .private_segment_fixed_size: 0
    .sgpr_count:     24
    .sgpr_spill_count: 0
    .symbol:         _ZN9rocsparseL12ell2csr_fillILj256E21rocsparse_complex_numIfEiiEEvT2_S3_S3_PKS3_PKT0_21rocsparse_index_base_PKT1_PS3_PS6_S9_.kd
    .uniform_work_group_size: 1
    .uses_dynamic_stack: false
    .vgpr_count:     9
    .vgpr_spill_count: 0
    .wavefront_size: 64
  - .args:
      - .offset:         0
        .size:           4
        .value_kind:     by_value
      - .offset:         4
        .size:           4
        .value_kind:     by_value
      - .offset:         8
        .size:           4
        .value_kind:     by_value
      - .actual_access:  read_only
        .address_space:  global
        .offset:         16
        .size:           8
        .value_kind:     global_buffer
      - .actual_access:  read_only
        .address_space:  global
        .offset:         24
        .size:           8
        .value_kind:     global_buffer
      - .offset:         32
        .size:           4
        .value_kind:     by_value
      - .actual_access:  read_only
        .address_space:  global
        .offset:         40
        .size:           8
        .value_kind:     global_buffer
      - .actual_access:  write_only
        .address_space:  global
        .offset:         48
        .size:           8
        .value_kind:     global_buffer
      - .actual_access:  write_only
        .address_space:  global
        .offset:         56
        .size:           8
        .value_kind:     global_buffer
      - .offset:         64
        .size:           4
        .value_kind:     by_value
    .group_segment_fixed_size: 0
    .kernarg_segment_align: 8
    .kernarg_segment_size: 68
    .language:       OpenCL C
    .language_version:
      - 2
      - 0
    .max_flat_workgroup_size: 256
    .name:           _ZN9rocsparseL12ell2csr_fillILj256EdiiEEvT2_S1_S1_PKS1_PKT0_21rocsparse_index_base_PKT1_PS1_PS4_S7_
    .private_segment_fixed_size: 0
    .sgpr_count:     24
    .sgpr_spill_count: 0
    .symbol:         _ZN9rocsparseL12ell2csr_fillILj256EdiiEEvT2_S1_S1_PKS1_PKT0_21rocsparse_index_base_PKT1_PS1_PS4_S7_.kd
    .uniform_work_group_size: 1
    .uses_dynamic_stack: false
    .vgpr_count:     10
    .vgpr_spill_count: 0
    .wavefront_size: 64
  - .args:
      - .offset:         0
        .size:           4
        .value_kind:     by_value
      - .offset:         4
        .size:           4
        .value_kind:     by_value
      - .offset:         8
        .size:           4
        .value_kind:     by_value
      - .actual_access:  read_only
        .address_space:  global
        .offset:         16
        .size:           8
        .value_kind:     global_buffer
      - .actual_access:  read_only
        .address_space:  global
        .offset:         24
        .size:           8
        .value_kind:     global_buffer
      - .offset:         32
        .size:           4
        .value_kind:     by_value
      - .actual_access:  read_only
        .address_space:  global
        .offset:         40
        .size:           8
        .value_kind:     global_buffer
      - .actual_access:  write_only
        .address_space:  global
        .offset:         48
        .size:           8
        .value_kind:     global_buffer
      - .actual_access:  write_only
        .address_space:  global
        .offset:         56
        .size:           8
        .value_kind:     global_buffer
      - .offset:         64
        .size:           4
        .value_kind:     by_value
    .group_segment_fixed_size: 0
    .kernarg_segment_align: 8
    .kernarg_segment_size: 68
    .language:       OpenCL C
    .language_version:
      - 2
      - 0
    .max_flat_workgroup_size: 256
    .name:           _ZN9rocsparseL12ell2csr_fillILj256E21rocsparse_complex_numIdEiiEEvT2_S3_S3_PKS3_PKT0_21rocsparse_index_base_PKT1_PS3_PS6_S9_
    .private_segment_fixed_size: 0
    .sgpr_count:     24
    .sgpr_spill_count: 0
    .symbol:         _ZN9rocsparseL12ell2csr_fillILj256E21rocsparse_complex_numIdEiiEEvT2_S3_S3_PKS3_PKT0_21rocsparse_index_base_PKT1_PS3_PS6_S9_.kd
    .uniform_work_group_size: 1
    .uses_dynamic_stack: false
    .vgpr_count:     11
    .vgpr_spill_count: 0
    .wavefront_size: 64
  - .args:
      - .offset:         0
        .size:           4
        .value_kind:     by_value
      - .offset:         4
        .size:           4
        .value_kind:     by_value
      - .offset:         8
        .size:           4
        .value_kind:     by_value
      - .actual_access:  read_only
        .address_space:  global
        .offset:         16
        .size:           8
        .value_kind:     global_buffer
      - .actual_access:  read_only
        .address_space:  global
        .offset:         24
        .size:           8
        .value_kind:     global_buffer
      - .offset:         32
        .size:           4
        .value_kind:     by_value
      - .actual_access:  read_only
        .address_space:  global
        .offset:         40
        .size:           8
        .value_kind:     global_buffer
      - .actual_access:  write_only
        .address_space:  global
        .offset:         48
        .size:           8
        .value_kind:     global_buffer
      - .actual_access:  write_only
        .address_space:  global
        .offset:         56
        .size:           8
        .value_kind:     global_buffer
      - .offset:         64
        .size:           4
        .value_kind:     by_value
    .group_segment_fixed_size: 0
    .kernarg_segment_align: 8
    .kernarg_segment_size: 68
    .language:       OpenCL C
    .language_version:
      - 2
      - 0
    .max_flat_workgroup_size: 256
    .name:           _ZN9rocsparseL12ell2csr_fillILj256EfliEEvT2_S1_S1_PKS1_PKT0_21rocsparse_index_base_PKT1_PS1_PS4_S7_
    .private_segment_fixed_size: 0
    .sgpr_count:     22
    .sgpr_spill_count: 0
    .symbol:         _ZN9rocsparseL12ell2csr_fillILj256EfliEEvT2_S1_S1_PKS1_PKT0_21rocsparse_index_base_PKT1_PS1_PS4_S7_.kd
    .uniform_work_group_size: 1
    .uses_dynamic_stack: false
    .vgpr_count:     11
    .vgpr_spill_count: 0
    .wavefront_size: 64
  - .args:
      - .offset:         0
        .size:           4
        .value_kind:     by_value
      - .offset:         4
        .size:           4
        .value_kind:     by_value
      - .offset:         8
        .size:           4
        .value_kind:     by_value
      - .actual_access:  read_only
        .address_space:  global
        .offset:         16
        .size:           8
        .value_kind:     global_buffer
      - .actual_access:  read_only
        .address_space:  global
        .offset:         24
        .size:           8
        .value_kind:     global_buffer
      - .offset:         32
        .size:           4
        .value_kind:     by_value
      - .actual_access:  read_only
        .address_space:  global
        .offset:         40
        .size:           8
        .value_kind:     global_buffer
      - .actual_access:  write_only
        .address_space:  global
        .offset:         48
        .size:           8
        .value_kind:     global_buffer
      - .actual_access:  write_only
        .address_space:  global
        .offset:         56
        .size:           8
        .value_kind:     global_buffer
      - .offset:         64
        .size:           4
        .value_kind:     by_value
    .group_segment_fixed_size: 0
    .kernarg_segment_align: 8
    .kernarg_segment_size: 68
    .language:       OpenCL C
    .language_version:
      - 2
      - 0
    .max_flat_workgroup_size: 256
    .name:           _ZN9rocsparseL12ell2csr_fillILj256E21rocsparse_complex_numIfEliEEvT2_S3_S3_PKS3_PKT0_21rocsparse_index_base_PKT1_PS3_PS6_S9_
    .private_segment_fixed_size: 0
    .sgpr_count:     24
    .sgpr_spill_count: 0
    .symbol:         _ZN9rocsparseL12ell2csr_fillILj256E21rocsparse_complex_numIfEliEEvT2_S3_S3_PKS3_PKT0_21rocsparse_index_base_PKT1_PS3_PS6_S9_.kd
    .uniform_work_group_size: 1
    .uses_dynamic_stack: false
    .vgpr_count:     9
    .vgpr_spill_count: 0
    .wavefront_size: 64
  - .args:
      - .offset:         0
        .size:           4
        .value_kind:     by_value
      - .offset:         4
        .size:           4
        .value_kind:     by_value
      - .offset:         8
        .size:           4
        .value_kind:     by_value
      - .actual_access:  read_only
        .address_space:  global
        .offset:         16
        .size:           8
        .value_kind:     global_buffer
      - .actual_access:  read_only
        .address_space:  global
        .offset:         24
        .size:           8
        .value_kind:     global_buffer
      - .offset:         32
        .size:           4
        .value_kind:     by_value
      - .actual_access:  read_only
        .address_space:  global
        .offset:         40
        .size:           8
        .value_kind:     global_buffer
      - .actual_access:  write_only
        .address_space:  global
        .offset:         48
        .size:           8
        .value_kind:     global_buffer
      - .actual_access:  write_only
        .address_space:  global
        .offset:         56
        .size:           8
        .value_kind:     global_buffer
      - .offset:         64
        .size:           4
        .value_kind:     by_value
    .group_segment_fixed_size: 0
    .kernarg_segment_align: 8
    .kernarg_segment_size: 68
    .language:       OpenCL C
    .language_version:
      - 2
      - 0
    .max_flat_workgroup_size: 256
    .name:           _ZN9rocsparseL12ell2csr_fillILj256EdliEEvT2_S1_S1_PKS1_PKT0_21rocsparse_index_base_PKT1_PS1_PS4_S7_
    .private_segment_fixed_size: 0
    .sgpr_count:     24
    .sgpr_spill_count: 0
    .symbol:         _ZN9rocsparseL12ell2csr_fillILj256EdliEEvT2_S1_S1_PKS1_PKT0_21rocsparse_index_base_PKT1_PS1_PS4_S7_.kd
    .uniform_work_group_size: 1
    .uses_dynamic_stack: false
    .vgpr_count:     10
    .vgpr_spill_count: 0
    .wavefront_size: 64
  - .args:
      - .offset:         0
        .size:           4
        .value_kind:     by_value
      - .offset:         4
        .size:           4
        .value_kind:     by_value
      - .offset:         8
        .size:           4
        .value_kind:     by_value
      - .actual_access:  read_only
        .address_space:  global
        .offset:         16
        .size:           8
        .value_kind:     global_buffer
      - .actual_access:  read_only
        .address_space:  global
        .offset:         24
        .size:           8
        .value_kind:     global_buffer
      - .offset:         32
        .size:           4
        .value_kind:     by_value
      - .actual_access:  read_only
        .address_space:  global
        .offset:         40
        .size:           8
        .value_kind:     global_buffer
      - .actual_access:  write_only
        .address_space:  global
        .offset:         48
        .size:           8
        .value_kind:     global_buffer
      - .actual_access:  write_only
        .address_space:  global
        .offset:         56
        .size:           8
        .value_kind:     global_buffer
      - .offset:         64
        .size:           4
        .value_kind:     by_value
    .group_segment_fixed_size: 0
    .kernarg_segment_align: 8
    .kernarg_segment_size: 68
    .language:       OpenCL C
    .language_version:
      - 2
      - 0
    .max_flat_workgroup_size: 256
    .name:           _ZN9rocsparseL12ell2csr_fillILj256E21rocsparse_complex_numIdEliEEvT2_S3_S3_PKS3_PKT0_21rocsparse_index_base_PKT1_PS3_PS6_S9_
    .private_segment_fixed_size: 0
    .sgpr_count:     24
    .sgpr_spill_count: 0
    .symbol:         _ZN9rocsparseL12ell2csr_fillILj256E21rocsparse_complex_numIdEliEEvT2_S3_S3_PKS3_PKT0_21rocsparse_index_base_PKT1_PS3_PS6_S9_.kd
    .uniform_work_group_size: 1
    .uses_dynamic_stack: false
    .vgpr_count:     11
    .vgpr_spill_count: 0
    .wavefront_size: 64
  - .args:
      - .offset:         0
        .size:           8
        .value_kind:     by_value
      - .offset:         8
        .size:           8
        .value_kind:     by_value
      - .offset:         16
        .size:           8
        .value_kind:     by_value
      - .actual_access:  read_only
        .address_space:  global
        .offset:         24
        .size:           8
        .value_kind:     global_buffer
      - .actual_access:  read_only
        .address_space:  global
        .offset:         32
        .size:           8
        .value_kind:     global_buffer
      - .offset:         40
        .size:           4
        .value_kind:     by_value
      - .actual_access:  read_only
        .address_space:  global
        .offset:         48
        .size:           8
        .value_kind:     global_buffer
      - .actual_access:  write_only
        .address_space:  global
        .offset:         56
        .size:           8
        .value_kind:     global_buffer
      - .actual_access:  write_only
        .address_space:  global
        .offset:         64
        .size:           8
        .value_kind:     global_buffer
      - .offset:         72
        .size:           4
        .value_kind:     by_value
    .group_segment_fixed_size: 0
    .kernarg_segment_align: 8
    .kernarg_segment_size: 76
    .language:       OpenCL C
    .language_version:
      - 2
      - 0
    .max_flat_workgroup_size: 256
    .name:           _ZN9rocsparseL12ell2csr_fillILj256EfilEEvT2_S1_S1_PKS1_PKT0_21rocsparse_index_base_PKT1_PS1_PS4_S7_
    .private_segment_fixed_size: 0
    .sgpr_count:     24
    .sgpr_spill_count: 0
    .symbol:         _ZN9rocsparseL12ell2csr_fillILj256EfilEEvT2_S1_S1_PKS1_PKT0_21rocsparse_index_base_PKT1_PS1_PS4_S7_.kd
    .uniform_work_group_size: 1
    .uses_dynamic_stack: false
    .vgpr_count:     11
    .vgpr_spill_count: 0
    .wavefront_size: 64
  - .args:
      - .offset:         0
        .size:           8
        .value_kind:     by_value
      - .offset:         8
        .size:           8
        .value_kind:     by_value
      - .offset:         16
        .size:           8
        .value_kind:     by_value
      - .actual_access:  read_only
        .address_space:  global
        .offset:         24
        .size:           8
        .value_kind:     global_buffer
      - .actual_access:  read_only
        .address_space:  global
        .offset:         32
        .size:           8
        .value_kind:     global_buffer
      - .offset:         40
        .size:           4
        .value_kind:     by_value
      - .actual_access:  read_only
        .address_space:  global
        .offset:         48
        .size:           8
        .value_kind:     global_buffer
      - .actual_access:  write_only
        .address_space:  global
        .offset:         56
        .size:           8
        .value_kind:     global_buffer
      - .actual_access:  write_only
        .address_space:  global
        .offset:         64
        .size:           8
        .value_kind:     global_buffer
      - .offset:         72
        .size:           4
        .value_kind:     by_value
    .group_segment_fixed_size: 0
    .kernarg_segment_align: 8
    .kernarg_segment_size: 76
    .language:       OpenCL C
    .language_version:
      - 2
      - 0
    .max_flat_workgroup_size: 256
    .name:           _ZN9rocsparseL12ell2csr_fillILj256E21rocsparse_complex_numIfEilEEvT2_S3_S3_PKS3_PKT0_21rocsparse_index_base_PKT1_PS3_PS6_S9_
    .private_segment_fixed_size: 0
    .sgpr_count:     24
    .sgpr_spill_count: 0
    .symbol:         _ZN9rocsparseL12ell2csr_fillILj256E21rocsparse_complex_numIfEilEEvT2_S3_S3_PKS3_PKT0_21rocsparse_index_base_PKT1_PS3_PS6_S9_.kd
    .uniform_work_group_size: 1
    .uses_dynamic_stack: false
    .vgpr_count:     11
    .vgpr_spill_count: 0
    .wavefront_size: 64
  - .args:
      - .offset:         0
        .size:           8
        .value_kind:     by_value
      - .offset:         8
        .size:           8
        .value_kind:     by_value
      - .offset:         16
        .size:           8
        .value_kind:     by_value
      - .actual_access:  read_only
        .address_space:  global
        .offset:         24
        .size:           8
        .value_kind:     global_buffer
      - .actual_access:  read_only
        .address_space:  global
        .offset:         32
        .size:           8
        .value_kind:     global_buffer
      - .offset:         40
        .size:           4
        .value_kind:     by_value
      - .actual_access:  read_only
        .address_space:  global
        .offset:         48
        .size:           8
        .value_kind:     global_buffer
      - .actual_access:  write_only
        .address_space:  global
        .offset:         56
        .size:           8
        .value_kind:     global_buffer
      - .actual_access:  write_only
        .address_space:  global
        .offset:         64
        .size:           8
        .value_kind:     global_buffer
      - .offset:         72
        .size:           4
        .value_kind:     by_value
    .group_segment_fixed_size: 0
    .kernarg_segment_align: 8
    .kernarg_segment_size: 76
    .language:       OpenCL C
    .language_version:
      - 2
      - 0
    .max_flat_workgroup_size: 256
    .name:           _ZN9rocsparseL12ell2csr_fillILj256EdilEEvT2_S1_S1_PKS1_PKT0_21rocsparse_index_base_PKT1_PS1_PS4_S7_
    .private_segment_fixed_size: 0
    .sgpr_count:     24
    .sgpr_spill_count: 0
    .symbol:         _ZN9rocsparseL12ell2csr_fillILj256EdilEEvT2_S1_S1_PKS1_PKT0_21rocsparse_index_base_PKT1_PS1_PS4_S7_.kd
    .uniform_work_group_size: 1
    .uses_dynamic_stack: false
    .vgpr_count:     11
    .vgpr_spill_count: 0
    .wavefront_size: 64
  - .args:
      - .offset:         0
        .size:           8
        .value_kind:     by_value
      - .offset:         8
        .size:           8
        .value_kind:     by_value
      - .offset:         16
        .size:           8
        .value_kind:     by_value
      - .actual_access:  read_only
        .address_space:  global
        .offset:         24
        .size:           8
        .value_kind:     global_buffer
      - .actual_access:  read_only
        .address_space:  global
        .offset:         32
        .size:           8
        .value_kind:     global_buffer
      - .offset:         40
        .size:           4
        .value_kind:     by_value
      - .actual_access:  read_only
        .address_space:  global
        .offset:         48
        .size:           8
        .value_kind:     global_buffer
      - .actual_access:  write_only
        .address_space:  global
        .offset:         56
        .size:           8
        .value_kind:     global_buffer
      - .actual_access:  write_only
        .address_space:  global
        .offset:         64
        .size:           8
        .value_kind:     global_buffer
      - .offset:         72
        .size:           4
        .value_kind:     by_value
    .group_segment_fixed_size: 0
    .kernarg_segment_align: 8
    .kernarg_segment_size: 76
    .language:       OpenCL C
    .language_version:
      - 2
      - 0
    .max_flat_workgroup_size: 256
    .name:           _ZN9rocsparseL12ell2csr_fillILj256E21rocsparse_complex_numIdEilEEvT2_S3_S3_PKS3_PKT0_21rocsparse_index_base_PKT1_PS3_PS6_S9_
    .private_segment_fixed_size: 0
    .sgpr_count:     24
    .sgpr_spill_count: 0
    .symbol:         _ZN9rocsparseL12ell2csr_fillILj256E21rocsparse_complex_numIdEilEEvT2_S3_S3_PKS3_PKT0_21rocsparse_index_base_PKT1_PS3_PS6_S9_.kd
    .uniform_work_group_size: 1
    .uses_dynamic_stack: false
    .vgpr_count:     13
    .vgpr_spill_count: 0
    .wavefront_size: 64
  - .args:
      - .offset:         0
        .size:           8
        .value_kind:     by_value
      - .offset:         8
        .size:           8
        .value_kind:     by_value
      - .offset:         16
        .size:           8
        .value_kind:     by_value
      - .actual_access:  read_only
        .address_space:  global
        .offset:         24
        .size:           8
        .value_kind:     global_buffer
      - .actual_access:  read_only
        .address_space:  global
        .offset:         32
        .size:           8
        .value_kind:     global_buffer
      - .offset:         40
        .size:           4
        .value_kind:     by_value
      - .actual_access:  read_only
        .address_space:  global
        .offset:         48
        .size:           8
        .value_kind:     global_buffer
      - .actual_access:  write_only
        .address_space:  global
        .offset:         56
        .size:           8
        .value_kind:     global_buffer
      - .actual_access:  write_only
        .address_space:  global
        .offset:         64
        .size:           8
        .value_kind:     global_buffer
      - .offset:         72
        .size:           4
        .value_kind:     by_value
    .group_segment_fixed_size: 0
    .kernarg_segment_align: 8
    .kernarg_segment_size: 76
    .language:       OpenCL C
    .language_version:
      - 2
      - 0
    .max_flat_workgroup_size: 256
    .name:           _ZN9rocsparseL12ell2csr_fillILj256EfllEEvT2_S1_S1_PKS1_PKT0_21rocsparse_index_base_PKT1_PS1_PS4_S7_
    .private_segment_fixed_size: 0
    .sgpr_count:     28
    .sgpr_spill_count: 0
    .symbol:         _ZN9rocsparseL12ell2csr_fillILj256EfllEEvT2_S1_S1_PKS1_PKT0_21rocsparse_index_base_PKT1_PS1_PS4_S7_.kd
    .uniform_work_group_size: 1
    .uses_dynamic_stack: false
    .vgpr_count:     13
    .vgpr_spill_count: 0
    .wavefront_size: 64
  - .args:
      - .offset:         0
        .size:           8
        .value_kind:     by_value
      - .offset:         8
        .size:           8
        .value_kind:     by_value
      - .offset:         16
        .size:           8
        .value_kind:     by_value
      - .actual_access:  read_only
        .address_space:  global
        .offset:         24
        .size:           8
        .value_kind:     global_buffer
      - .actual_access:  read_only
        .address_space:  global
        .offset:         32
        .size:           8
        .value_kind:     global_buffer
      - .offset:         40
        .size:           4
        .value_kind:     by_value
      - .actual_access:  read_only
        .address_space:  global
        .offset:         48
        .size:           8
        .value_kind:     global_buffer
      - .actual_access:  write_only
        .address_space:  global
        .offset:         56
        .size:           8
        .value_kind:     global_buffer
      - .actual_access:  write_only
        .address_space:  global
        .offset:         64
        .size:           8
        .value_kind:     global_buffer
      - .offset:         72
        .size:           4
        .value_kind:     by_value
    .group_segment_fixed_size: 0
    .kernarg_segment_align: 8
    .kernarg_segment_size: 76
    .language:       OpenCL C
    .language_version:
      - 2
      - 0
    .max_flat_workgroup_size: 256
    .name:           _ZN9rocsparseL12ell2csr_fillILj256E21rocsparse_complex_numIfEllEEvT2_S3_S3_PKS3_PKT0_21rocsparse_index_base_PKT1_PS3_PS6_S9_
    .private_segment_fixed_size: 0
    .sgpr_count:     26
    .sgpr_spill_count: 0
    .symbol:         _ZN9rocsparseL12ell2csr_fillILj256E21rocsparse_complex_numIfEllEEvT2_S3_S3_PKS3_PKT0_21rocsparse_index_base_PKT1_PS3_PS6_S9_.kd
    .uniform_work_group_size: 1
    .uses_dynamic_stack: false
    .vgpr_count:     10
    .vgpr_spill_count: 0
    .wavefront_size: 64
  - .args:
      - .offset:         0
        .size:           8
        .value_kind:     by_value
      - .offset:         8
        .size:           8
        .value_kind:     by_value
      - .offset:         16
        .size:           8
        .value_kind:     by_value
      - .actual_access:  read_only
        .address_space:  global
        .offset:         24
        .size:           8
        .value_kind:     global_buffer
      - .actual_access:  read_only
        .address_space:  global
        .offset:         32
        .size:           8
        .value_kind:     global_buffer
      - .offset:         40
        .size:           4
        .value_kind:     by_value
      - .actual_access:  read_only
        .address_space:  global
        .offset:         48
        .size:           8
        .value_kind:     global_buffer
      - .actual_access:  write_only
        .address_space:  global
        .offset:         56
        .size:           8
        .value_kind:     global_buffer
      - .actual_access:  write_only
        .address_space:  global
        .offset:         64
        .size:           8
        .value_kind:     global_buffer
      - .offset:         72
        .size:           4
        .value_kind:     by_value
    .group_segment_fixed_size: 0
    .kernarg_segment_align: 8
    .kernarg_segment_size: 76
    .language:       OpenCL C
    .language_version:
      - 2
      - 0
    .max_flat_workgroup_size: 256
    .name:           _ZN9rocsparseL12ell2csr_fillILj256EdllEEvT2_S1_S1_PKS1_PKT0_21rocsparse_index_base_PKT1_PS1_PS4_S7_
    .private_segment_fixed_size: 0
    .sgpr_count:     26
    .sgpr_spill_count: 0
    .symbol:         _ZN9rocsparseL12ell2csr_fillILj256EdllEEvT2_S1_S1_PKS1_PKT0_21rocsparse_index_base_PKT1_PS1_PS4_S7_.kd
    .uniform_work_group_size: 1
    .uses_dynamic_stack: false
    .vgpr_count:     12
    .vgpr_spill_count: 0
    .wavefront_size: 64
  - .args:
      - .offset:         0
        .size:           8
        .value_kind:     by_value
      - .offset:         8
        .size:           8
        .value_kind:     by_value
      - .offset:         16
        .size:           8
        .value_kind:     by_value
      - .actual_access:  read_only
        .address_space:  global
        .offset:         24
        .size:           8
        .value_kind:     global_buffer
      - .actual_access:  read_only
        .address_space:  global
        .offset:         32
        .size:           8
        .value_kind:     global_buffer
      - .offset:         40
        .size:           4
        .value_kind:     by_value
      - .actual_access:  read_only
        .address_space:  global
        .offset:         48
        .size:           8
        .value_kind:     global_buffer
      - .actual_access:  write_only
        .address_space:  global
        .offset:         56
        .size:           8
        .value_kind:     global_buffer
      - .actual_access:  write_only
        .address_space:  global
        .offset:         64
        .size:           8
        .value_kind:     global_buffer
      - .offset:         72
        .size:           4
        .value_kind:     by_value
    .group_segment_fixed_size: 0
    .kernarg_segment_align: 8
    .kernarg_segment_size: 76
    .language:       OpenCL C
    .language_version:
      - 2
      - 0
    .max_flat_workgroup_size: 256
    .name:           _ZN9rocsparseL12ell2csr_fillILj256E21rocsparse_complex_numIdEllEEvT2_S3_S3_PKS3_PKT0_21rocsparse_index_base_PKT1_PS3_PS6_S9_
    .private_segment_fixed_size: 0
    .sgpr_count:     28
    .sgpr_spill_count: 0
    .symbol:         _ZN9rocsparseL12ell2csr_fillILj256E21rocsparse_complex_numIdEllEEvT2_S3_S3_PKS3_PKT0_21rocsparse_index_base_PKT1_PS3_PS6_S9_.kd
    .uniform_work_group_size: 1
    .uses_dynamic_stack: false
    .vgpr_count:     16
    .vgpr_spill_count: 0
    .wavefront_size: 64
  - .args:
      - .offset:         0
        .size:           4
        .value_kind:     by_value
      - .offset:         4
        .size:           4
        .value_kind:     by_value
      - .offset:         8
        .size:           4
        .value_kind:     by_value
      - .actual_access:  read_only
        .address_space:  global
        .offset:         16
        .size:           8
        .value_kind:     global_buffer
      - .offset:         24
        .size:           4
        .value_kind:     by_value
      - .actual_access:  write_only
        .address_space:  global
        .offset:         32
        .size:           8
        .value_kind:     global_buffer
      - .offset:         40
        .size:           4
        .value_kind:     by_value
    .group_segment_fixed_size: 0
    .kernarg_segment_align: 8
    .kernarg_segment_size: 44
    .language:       OpenCL C
    .language_version:
      - 2
      - 0
    .max_flat_workgroup_size: 256
    .name:           _ZN9rocsparseL19ell2csr_nnz_per_rowILj256EiiEEvT1_S1_S1_PKS1_21rocsparse_index_base_PT0_S4_
    .private_segment_fixed_size: 0
    .sgpr_count:     22
    .sgpr_spill_count: 0
    .symbol:         _ZN9rocsparseL19ell2csr_nnz_per_rowILj256EiiEEvT1_S1_S1_PKS1_21rocsparse_index_base_PT0_S4_.kd
    .uniform_work_group_size: 1
    .uses_dynamic_stack: false
    .vgpr_count:     6
    .vgpr_spill_count: 0
    .wavefront_size: 64
  - .args:
      - .address_space:  global
        .offset:         0
        .size:           8
        .value_kind:     global_buffer
    .group_segment_fixed_size: 0
    .kernarg_segment_align: 8
    .kernarg_segment_size: 8
    .language:       OpenCL C
    .language_version:
      - 2
      - 0
    .max_flat_workgroup_size: 1
    .name:           _ZN9rocsparseL18ell2csr_index_baseILj1EiEEvPT0_
    .private_segment_fixed_size: 0
    .sgpr_count:     10
    .sgpr_spill_count: 0
    .symbol:         _ZN9rocsparseL18ell2csr_index_baseILj1EiEEvPT0_.kd
    .uniform_work_group_size: 1
    .uses_dynamic_stack: false
    .vgpr_count:     2
    .vgpr_spill_count: 0
    .wavefront_size: 64
  - .args:
      - .offset:         0
        .size:           4
        .value_kind:     by_value
      - .offset:         4
        .size:           4
        .value_kind:     by_value
      - .offset:         8
        .size:           4
        .value_kind:     by_value
      - .actual_access:  read_only
        .address_space:  global
        .offset:         16
        .size:           8
        .value_kind:     global_buffer
      - .offset:         24
        .size:           4
        .value_kind:     by_value
      - .actual_access:  write_only
        .address_space:  global
        .offset:         32
        .size:           8
        .value_kind:     global_buffer
      - .offset:         40
        .size:           4
        .value_kind:     by_value
    .group_segment_fixed_size: 0
    .kernarg_segment_align: 8
    .kernarg_segment_size: 44
    .language:       OpenCL C
    .language_version:
      - 2
      - 0
    .max_flat_workgroup_size: 256
    .name:           _ZN9rocsparseL19ell2csr_nnz_per_rowILj256EliEEvT1_S1_S1_PKS1_21rocsparse_index_base_PT0_S4_
    .private_segment_fixed_size: 0
    .sgpr_count:     24
    .sgpr_spill_count: 0
    .symbol:         _ZN9rocsparseL19ell2csr_nnz_per_rowILj256EliEEvT1_S1_S1_PKS1_21rocsparse_index_base_PT0_S4_.kd
    .uniform_work_group_size: 1
    .uses_dynamic_stack: false
    .vgpr_count:     6
    .vgpr_spill_count: 0
    .wavefront_size: 64
  - .args:
      - .address_space:  global
        .offset:         0
        .size:           8
        .value_kind:     global_buffer
    .group_segment_fixed_size: 0
    .kernarg_segment_align: 8
    .kernarg_segment_size: 8
    .language:       OpenCL C
    .language_version:
      - 2
      - 0
    .max_flat_workgroup_size: 1
    .name:           _ZN9rocsparseL18ell2csr_index_baseILj1ElEEvPT0_
    .private_segment_fixed_size: 0
    .sgpr_count:     10
    .sgpr_spill_count: 0
    .symbol:         _ZN9rocsparseL18ell2csr_index_baseILj1ElEEvPT0_.kd
    .uniform_work_group_size: 1
    .uses_dynamic_stack: false
    .vgpr_count:     3
    .vgpr_spill_count: 0
    .wavefront_size: 64
  - .args:
      - .offset:         0
        .size:           8
        .value_kind:     by_value
      - .offset:         8
        .size:           8
        .value_kind:     by_value
      - .offset:         16
        .size:           8
        .value_kind:     by_value
      - .actual_access:  read_only
        .address_space:  global
        .offset:         24
        .size:           8
        .value_kind:     global_buffer
      - .offset:         32
        .size:           4
        .value_kind:     by_value
      - .actual_access:  write_only
        .address_space:  global
        .offset:         40
        .size:           8
        .value_kind:     global_buffer
      - .offset:         48
        .size:           4
        .value_kind:     by_value
    .group_segment_fixed_size: 0
    .kernarg_segment_align: 8
    .kernarg_segment_size: 52
    .language:       OpenCL C
    .language_version:
      - 2
      - 0
    .max_flat_workgroup_size: 256
    .name:           _ZN9rocsparseL19ell2csr_nnz_per_rowILj256EilEEvT1_S1_S1_PKS1_21rocsparse_index_base_PT0_S4_
    .private_segment_fixed_size: 0
    .sgpr_count:     24
    .sgpr_spill_count: 0
    .symbol:         _ZN9rocsparseL19ell2csr_nnz_per_rowILj256EilEEvT1_S1_S1_PKS1_21rocsparse_index_base_PT0_S4_.kd
    .uniform_work_group_size: 1
    .uses_dynamic_stack: false
    .vgpr_count:     7
    .vgpr_spill_count: 0
    .wavefront_size: 64
  - .args:
      - .offset:         0
        .size:           8
        .value_kind:     by_value
      - .offset:         8
        .size:           8
        .value_kind:     by_value
      - .offset:         16
        .size:           8
        .value_kind:     by_value
      - .actual_access:  read_only
        .address_space:  global
        .offset:         24
        .size:           8
        .value_kind:     global_buffer
      - .offset:         32
        .size:           4
        .value_kind:     by_value
      - .actual_access:  write_only
        .address_space:  global
        .offset:         40
        .size:           8
        .value_kind:     global_buffer
      - .offset:         48
        .size:           4
        .value_kind:     by_value
    .group_segment_fixed_size: 0
    .kernarg_segment_align: 8
    .kernarg_segment_size: 52
    .language:       OpenCL C
    .language_version:
      - 2
      - 0
    .max_flat_workgroup_size: 256
    .name:           _ZN9rocsparseL19ell2csr_nnz_per_rowILj256EllEEvT1_S1_S1_PKS1_21rocsparse_index_base_PT0_S4_
    .private_segment_fixed_size: 0
    .sgpr_count:     24
    .sgpr_spill_count: 0
    .symbol:         _ZN9rocsparseL19ell2csr_nnz_per_rowILj256EllEEvT1_S1_S1_PKS1_21rocsparse_index_base_PT0_S4_.kd
    .uniform_work_group_size: 1
    .uses_dynamic_stack: false
    .vgpr_count:     6
    .vgpr_spill_count: 0
    .wavefront_size: 64
amdhsa.target:   amdgcn-amd-amdhsa--gfx906
amdhsa.version:
  - 1
  - 2
...

	.end_amdgpu_metadata
